;; amdgpu-corpus repo=LLNL/RAJAPerf kind=compiled arch=gfx1250 opt=O3
	.amdgcn_target "amdgcn-amd-amdhsa--gfx1250"
	.amdhsa_code_object_version 6
	.section	.text._ZN8rajaperf4apps15MassVec3DPALoopILm64EEEvPdS2_S2_S2_,"axG",@progbits,_ZN8rajaperf4apps15MassVec3DPALoopILm64EEEvPdS2_S2_S2_,comdat
	.protected	_ZN8rajaperf4apps15MassVec3DPALoopILm64EEEvPdS2_S2_S2_ ; -- Begin function _ZN8rajaperf4apps15MassVec3DPALoopILm64EEEvPdS2_S2_S2_
	.globl	_ZN8rajaperf4apps15MassVec3DPALoopILm64EEEvPdS2_S2_S2_
	.p2align	8
	.type	_ZN8rajaperf4apps15MassVec3DPALoopILm64EEEvPdS2_S2_S2_,@function
_ZN8rajaperf4apps15MassVec3DPALoopILm64EEEvPdS2_S2_S2_: ; @_ZN8rajaperf4apps15MassVec3DPALoopILm64EEEvPdS2_S2_S2_
; %bb.0:
	v_bfe_u32 v8, v0, 20, 10
	v_bfe_u32 v10, v0, 10, 10
	v_mov_b32_e32 v11, 0
	v_and_b32_e32 v12, 0x3ff, v0
                                        ; implicit-def: $vgpr2_vgpr3
                                        ; implicit-def: $vgpr4_vgpr5
	s_delay_alu instid0(VALU_DEP_4) | instskip(NEXT) | instid1(VALU_DEP_4)
	v_cmp_ne_u32_e64 s2, 0, v8
	v_cmp_lt_u32_e64 s3, 2, v10
	v_lshlrev_b32_e32 v16, 5, v10
	v_mov_b64_e32 v[6:7], v[10:11]
	v_cmp_gt_u32_e32 vcc_lo, 3, v10
	s_or_b32 s4, s2, s3
	s_add_nc_u64 s[2:3], s[0:1], 32
	s_and_saveexec_b32 s5, s4
	s_delay_alu instid0(SALU_CYCLE_1)
	s_xor_b32 s4, exec_lo, s5
; %bb.1:
	v_dual_mov_b32 v17, v11 :: v_dual_mov_b32 v13, v11
	v_and_b32_e32 v12, 0x3ff, v0
	v_mov_b32_e32 v3, v11
                                        ; implicit-def: $vgpr6_vgpr7
	s_delay_alu instid0(VALU_DEP_3) | instskip(NEXT) | instid1(VALU_DEP_3)
	v_mov_b64_e32 v[4:5], v[16:17]
                                        ; implicit-def: $vgpr16
	v_lshlrev_b32_e32 v2, 3, v12
; %bb.2:
	s_or_saveexec_b32 s14, s4
	s_load_b256 s[4:11], s[0:1], 0x0
	v_mov_b64_e32 v[14:15], s[2:3]
	s_xor_b32 exec_lo, exec_lo, s14
	s_cbranch_execz .LBB0_9
; %bb.3:
	v_dual_mov_b32 v13, 0 :: v_dual_lshlrev_b32 v4, 5, v10
	v_lshlrev_b32_e32 v2, 3, v12
	v_mul_u32_u24_e32 v14, 24, v12
	s_mov_b32 s15, 0
	global_load_u16 v0, v13, s[0:1] offset:46
	v_dual_mov_b32 v5, v13 :: v_dual_mov_b32 v3, v13
	v_lshlrev_b32_e32 v17, 3, v10
	v_add3_u32 v9, v16, v2, 0x460
	s_wait_xcnt 0x0
	v_cmp_gt_u32_e64 s0, 4, v12
	v_dual_mov_b32 v1, v13 :: v_dual_mov_b32 v15, v13
	v_add_nc_u64_e32 v[18:19], v[4:5], v[2:3]
	v_add3_u32 v22, v14, v17, 0x400
	s_wait_kmcnt 0x0
	s_delay_alu instid0(VALU_DEP_2) | instskip(SKIP_3) | instid1(VALU_DEP_1)
	v_add_nc_u64_e32 v[16:17], s[4:5], v[18:19]
	s_mov_b32 s5, 0
	s_wait_loadcnt 0x0
	v_and_b32_e32 v0, 0xffff, v0
	v_dual_lshlrev_b32 v14, 5, v0 :: v_dual_lshlrev_b32 v23, 3, v0
	s_branch .LBB0_5
.LBB0_4:                                ;   in Loop: Header=BB0_5 Depth=1
	s_or_b32 exec_lo, exec_lo, s16
	v_add_nc_u64_e32 v[6:7], v[6:7], v[0:1]
	v_add_nc_u64_e32 v[16:17], v[16:17], v[14:15]
	v_dual_add_nc_u32 v9, v9, v14 :: v_dual_add_nc_u32 v22, v22, v23
	s_delay_alu instid0(VALU_DEP_3) | instskip(SKIP_1) | instid1(SALU_CYCLE_1)
	v_cmp_lt_u64_e64 s1, 2, v[6:7]
	s_or_b32 s15, s1, s15
	s_and_not1_b32 exec_lo, exec_lo, s15
	s_cbranch_execz .LBB0_8
.LBB0_5:                                ; =>This Loop Header: Depth=1
                                        ;     Child Loop BB0_7 Depth 2
	s_and_saveexec_b32 s16, s0
	s_cbranch_execz .LBB0_4
; %bb.6:                                ;   in Loop: Header=BB0_5 Depth=1
	s_load_b32 s1, s[2:3], 0xc
	v_mov_b64_e32 v[18:19], v[16:17]
	v_mov_b64_e32 v[20:21], v[12:13]
	v_dual_mov_b32 v24, v22 :: v_dual_mov_b32 v25, v9
	s_mov_b32 s13, s5
	s_mov_b32 s18, 0
	s_wait_kmcnt 0x0
	s_and_b32 s4, s1, 0xffff
	s_delay_alu instid0(SALU_CYCLE_1)
	s_lshl_b32 s12, s4, 3
	s_mul_i32 s17, s4, 24
.LBB0_7:                                ;   Parent Loop BB0_5 Depth=1
                                        ; =>  This Inner Loop Header: Depth=2
	global_load_b64 v[26:27], v[18:19], off
	v_add_nc_u64_e32 v[20:21], s[4:5], v[20:21]
	s_wait_xcnt 0x0
	v_add_nc_u64_e32 v[18:19], s[12:13], v[18:19]
	s_wait_loadcnt 0x0
	ds_store_b64 v24, v[26:27]
	ds_store_b64 v25, v[26:27]
	v_cmp_lt_u64_e64 s1, 3, v[20:21]
	v_dual_add_nc_u32 v25, s12, v25 :: v_dual_add_nc_u32 v24, s17, v24
	s_or_b32 s18, s1, s18
	s_delay_alu instid0(SALU_CYCLE_1)
	s_and_not1_b32 exec_lo, exec_lo, s18
	s_cbranch_execnz .LBB0_7
	s_branch .LBB0_4
.LBB0_8:
	s_or_b32 exec_lo, exec_lo, s15
	v_mov_b64_e32 v[14:15], s[2:3]
.LBB0_9:
	s_or_b32 exec_lo, exec_lo, s14
	s_wait_xcnt 0x0
	s_bfe_u32 s0, ttmp6, 0x4000c
	s_and_b32 s1, ttmp6, 15
	s_add_co_i32 s0, s0, 1
	v_dual_mov_b32 v9, 0 :: v_dual_lshlrev_b32 v18, 3, v12
	s_mul_i32 s0, ttmp9, s0
	s_getreg_b32 s2, hwreg(HW_REG_IB_STS2, 6, 4)
	s_add_co_i32 s1, s1, s0
	v_mul_hi_u32_u24_e32 v1, 0x48, v8
	v_mul_u32_u24_e32 v0, 0x48, v8
	s_cmp_eq_u32 s2, 0
	v_mad_u32_u24 v24, v10, 24, v18
	s_cselect_b32 s12, ttmp9, s1
	v_mov_b64_e32 v[16:17], v[8:9]
	v_mad_nc_u64_u32 v[0:1], 0x288, s12, v[0:1]
	v_cmp_gt_u32_e64 s0, 3, v8
	v_cmp_gt_u32_e64 s1, 4, v8
	v_mad_u32_u24 v46, 0x48, v8, v24
	v_mad_u32_u24 v47, 0x60, v8, v18
	v_lshlrev_b32_e32 v8, 7, v8
	s_mov_b32 s13, 0
	s_wait_kmcnt 0x0
	v_cmp_gt_u32_e64 s4, 4, v10
	s_lshl_b64 s[2:3], s[12:13], 9
	v_add_nc_u32_e32 v51, 0x200, v24
	v_add_nc_u64_e32 v[6:7], s[2:3], v[8:9]
	v_mad_nc_u64_u32 v[0:1], v10, 24, v[0:1]
	v_cmp_gt_u32_e64 s2, 3, v12
	v_cmp_gt_u32_e64 s3, 4, v12
	s_delay_alu instid0(VALU_DEP_4) | instskip(SKIP_2) | instid1(VALU_DEP_2)
	v_add_nc_u64_e32 v[4:5], v[6:7], v[4:5]
	v_lshlrev_b32_e32 v6, 5, v10
	v_add_nc_u64_e32 v[0:1], v[0:1], v[2:3]
	v_add_nc_u32_e32 v48, v6, v18
	s_delay_alu instid0(VALU_DEP_4) | instskip(SKIP_1) | instid1(VALU_DEP_3)
	v_add_nc_u64_e32 v[4:5], v[4:5], v[2:3]
	v_add3_u32 v50, v47, v6, 0x200
	v_add_nc_u32_e32 v49, v48, v8
	v_add_nc_u64_e32 v[20:21], s[8:9], v[0:1]
	v_add_nc_u64_e32 v[22:23], s[10:11], v[0:1]
	;; [unrolled: 1-line block ×3, first 2 shown]
	s_mov_b64 s[6:7], 0
	s_branch .LBB0_11
.LBB0_10:                               ;   in Loop: Header=BB0_11 Depth=1
	s_or_b32 exec_lo, exec_lo, s8
	v_add_nc_u64_e32 v[20:21], 0xd8, v[20:21]
	v_add_nc_u64_e32 v[22:23], 0xd8, v[22:23]
	s_add_nc_u64 s[6:7], s[6:7], 1
	s_wait_storecnt 0x0
	s_cmp_eq_u64 s[6:7], 3
	s_barrier_signal -1
	s_barrier_wait -1
	s_cbranch_scc1 .LBB0_74
.LBB0_11:                               ; =>This Loop Header: Depth=1
                                        ;     Child Loop BB0_14 Depth 2
                                        ;       Child Loop BB0_17 Depth 3
                                        ;         Child Loop BB0_19 Depth 4
                                        ;     Child Loop BB0_23 Depth 2
                                        ;       Child Loop BB0_26 Depth 3
                                        ;         Child Loop BB0_28 Depth 4
	;; [unrolled: 3-line block ×7, first 2 shown]
	s_and_saveexec_b32 s8, s0
	s_cbranch_execz .LBB0_20
; %bb.12:                               ;   in Loop: Header=BB0_11 Depth=1
	global_load_u16 v0, v[14:15], off offset:16
	v_mov_b64_e32 v[2:3], v[20:21]
	v_mov_b64_e32 v[6:7], v[16:17]
	v_dual_mov_b32 v1, s13 :: v_dual_mov_b32 v38, v46
	s_mov_b32 s9, 0
	s_wait_loadcnt 0x0
	v_and_b32_e32 v0, 0xffff, v0
	s_delay_alu instid0(VALU_DEP_1)
	v_mul_hi_u32_u24_e32 v5, 0x48, v0
	v_mul_u32_u24_e32 v4, 0x48, v0
	s_branch .LBB0_14
.LBB0_13:                               ;   in Loop: Header=BB0_14 Depth=2
	s_or_b32 exec_lo, exec_lo, s10
	v_add_nc_u64_e32 v[6:7], v[6:7], v[0:1]
	v_add_nc_u64_e32 v[2:3], v[2:3], v[4:5]
	v_add_nc_u32_e32 v38, v38, v4
	s_delay_alu instid0(VALU_DEP_3) | instskip(SKIP_1) | instid1(SALU_CYCLE_1)
	v_cmp_lt_u64_e64 s5, 2, v[6:7]
	s_or_b32 s9, s5, s9
	s_and_not1_b32 exec_lo, exec_lo, s9
	s_cbranch_execz .LBB0_20
.LBB0_14:                               ;   Parent Loop BB0_11 Depth=1
                                        ; =>  This Loop Header: Depth=2
                                        ;       Child Loop BB0_17 Depth 3
                                        ;         Child Loop BB0_19 Depth 4
	s_and_saveexec_b32 s10, vcc_lo
	s_cbranch_execz .LBB0_13
; %bb.15:                               ;   in Loop: Header=BB0_14 Depth=2
	global_load_u16 v8, v[14:15], off offset:14
	v_mov_b64_e32 v[26:27], v[2:3]
	v_mov_b64_e32 v[30:31], v[10:11]
	v_dual_mov_b32 v25, s13 :: v_dual_mov_b32 v39, v38
	s_mov_b32 s11, 0
	s_wait_loadcnt 0x0
	v_and_b32_e32 v24, 0xffff, v8
	s_delay_alu instid0(VALU_DEP_1)
	v_mul_hi_u32_u24_e32 v29, 24, v24
	v_mul_u32_u24_e32 v28, 24, v24
	s_branch .LBB0_17
.LBB0_16:                               ;   in Loop: Header=BB0_17 Depth=3
	s_or_b32 exec_lo, exec_lo, s12
	v_add_nc_u64_e32 v[30:31], v[30:31], v[24:25]
	v_add_nc_u64_e32 v[26:27], v[26:27], v[28:29]
	v_add_nc_u32_e32 v39, v39, v28
	s_delay_alu instid0(VALU_DEP_3) | instskip(SKIP_1) | instid1(SALU_CYCLE_1)
	v_cmp_lt_u64_e64 s5, 2, v[30:31]
	s_or_b32 s11, s5, s11
	s_and_not1_b32 exec_lo, exec_lo, s11
	s_cbranch_execz .LBB0_13
.LBB0_17:                               ;   Parent Loop BB0_11 Depth=1
                                        ;     Parent Loop BB0_14 Depth=2
                                        ; =>    This Loop Header: Depth=3
                                        ;         Child Loop BB0_19 Depth 4
	s_wait_xcnt 0x0
	s_and_saveexec_b32 s12, s2
	s_cbranch_execz .LBB0_16
; %bb.18:                               ;   in Loop: Header=BB0_17 Depth=3
	global_load_u16 v8, v[14:15], off offset:12
	v_mov_b64_e32 v[34:35], v[26:27]
	v_mov_b64_e32 v[36:37], v[12:13]
	v_dual_mov_b32 v33, s13 :: v_dual_mov_b32 v40, v39
	s_mov_b32 s14, 0
	s_wait_loadcnt 0x0
	v_and_b32_e32 v32, 0xffff, v8
	s_delay_alu instid0(VALU_DEP_1)
	v_lshlrev_b32_e32 v8, 3, v32
.LBB0_19:                               ;   Parent Loop BB0_11 Depth=1
                                        ;     Parent Loop BB0_14 Depth=2
                                        ;       Parent Loop BB0_17 Depth=3
                                        ; =>      This Inner Loop Header: Depth=4
	global_load_b64 v[42:43], v[34:35], off
	v_add_nc_u64_e32 v[36:37], v[36:37], v[32:33]
	s_wait_xcnt 0x0
	v_add_nc_u64_e32 v[34:35], v[34:35], v[8:9]
	s_delay_alu instid0(VALU_DEP_2)
	v_cmp_lt_u64_e64 s5, 2, v[36:37]
	s_or_b32 s14, s5, s14
	s_wait_loadcnt 0x0
	ds_store_b64 v40, v[42:43]
	v_add_nc_u32_e32 v40, v40, v8
	s_and_not1_b32 exec_lo, exec_lo, s14
	s_cbranch_execnz .LBB0_19
	s_branch .LBB0_16
.LBB0_20:                               ;   in Loop: Header=BB0_11 Depth=1
	s_or_b32 exec_lo, exec_lo, s8
	s_wait_dscnt 0x0
	s_barrier_signal -1
	s_barrier_wait -1
	s_and_saveexec_b32 s8, s0
	s_cbranch_execz .LBB0_29
; %bb.21:                               ;   in Loop: Header=BB0_11 Depth=1
	global_load_u16 v0, v[14:15], off offset:16
	v_mov_b64_e32 v[6:7], v[16:17]
	v_dual_mov_b32 v5, s13 :: v_dual_mov_b32 v8, v50
	s_mov_b32 s9, 0
	s_wait_loadcnt 0x0
	v_and_b32_e32 v4, 0xffff, v0
	s_delay_alu instid0(VALU_DEP_1)
	v_mul_u32_u24_e32 v34, 0x60, v4
	s_branch .LBB0_23
.LBB0_22:                               ;   in Loop: Header=BB0_23 Depth=2
	s_or_b32 exec_lo, exec_lo, s10
	v_add_nc_u64_e32 v[6:7], v[6:7], v[4:5]
	v_add_nc_u32_e32 v8, v8, v34
	s_delay_alu instid0(VALU_DEP_2) | instskip(SKIP_1) | instid1(SALU_CYCLE_1)
	v_cmp_lt_u64_e64 s5, 2, v[6:7]
	s_or_b32 s9, s5, s9
	s_and_not1_b32 exec_lo, exec_lo, s9
	s_cbranch_execz .LBB0_29
.LBB0_23:                               ;   Parent Loop BB0_11 Depth=1
                                        ; =>  This Loop Header: Depth=2
                                        ;       Child Loop BB0_26 Depth 3
                                        ;         Child Loop BB0_28 Depth 4
	s_and_saveexec_b32 s10, vcc_lo
	s_cbranch_execz .LBB0_22
; %bb.24:                               ;   in Loop: Header=BB0_23 Depth=2
	global_load_u16 v0, v[14:15], off offset:14
	v_mul_lo_u32 v35, 0x48, v6
	v_mov_b64_e32 v[26:27], v[10:11]
	v_dual_mov_b32 v25, s13 :: v_dual_mov_b32 v36, v8
	s_mov_b32 s11, 0
	s_wait_loadcnt 0x0
	v_and_b32_e32 v24, 0xffff, v0
	s_delay_alu instid0(VALU_DEP_1)
	v_lshlrev_b32_e32 v37, 5, v24
	s_branch .LBB0_26
.LBB0_25:                               ;   in Loop: Header=BB0_26 Depth=3
	s_or_b32 exec_lo, exec_lo, s12
	v_add_nc_u64_e32 v[26:27], v[26:27], v[24:25]
	v_add_nc_u32_e32 v36, v36, v37
	s_delay_alu instid0(VALU_DEP_2) | instskip(SKIP_1) | instid1(SALU_CYCLE_1)
	v_cmp_lt_u64_e64 s5, 2, v[26:27]
	s_or_b32 s11, s5, s11
	s_and_not1_b32 exec_lo, exec_lo, s11
	s_cbranch_execz .LBB0_22
.LBB0_26:                               ;   Parent Loop BB0_11 Depth=1
                                        ;     Parent Loop BB0_23 Depth=2
                                        ; =>    This Loop Header: Depth=3
                                        ;         Child Loop BB0_28 Depth 4
	s_wait_xcnt 0x0
	s_and_saveexec_b32 s12, s3
	s_cbranch_execz .LBB0_25
; %bb.27:                               ;   in Loop: Header=BB0_26 Depth=3
	global_load_u16 v30, v[14:15], off offset:12
	v_mad_u32 v28, v26, 24, v35
	v_mad_u32 v39, v12, 24, 0x400
	v_mov_b64_e32 v[32:33], v[12:13]
	v_dual_mov_b32 v31, s13 :: v_dual_mov_b32 v38, v36
	s_mov_b32 s14, 0
	ds_load_2addr_b64 v[0:3], v28 offset1:1
	ds_load_b64 v[28:29], v28 offset:16
	s_wait_loadcnt 0x0
	v_and_b32_e32 v30, 0xffff, v30
	s_delay_alu instid0(VALU_DEP_1)
	v_lshlrev_b32_e32 v40, 3, v30
	v_mul_u32_u24_e32 v41, 24, v30
.LBB0_28:                               ;   Parent Loop BB0_11 Depth=1
                                        ;     Parent Loop BB0_23 Depth=2
                                        ;       Parent Loop BB0_26 Depth=3
                                        ; =>      This Inner Loop Header: Depth=4
	ds_load_2addr_b64 v[42:45], v39 offset1:1
	ds_load_b64 v[52:53], v39 offset:16
	v_add_nc_u64_e32 v[32:33], v[32:33], v[30:31]
	v_add_nc_u32_e32 v39, v39, v41
	s_delay_alu instid0(VALU_DEP_2) | instskip(SKIP_3) | instid1(VALU_DEP_1)
	v_cmp_lt_u64_e64 s5, 3, v[32:33]
	s_or_b32 s14, s5, s14
	s_wait_dscnt 0x1
	v_fma_f64 v[42:43], v[0:1], v[42:43], 0
	v_fmac_f64_e32 v[42:43], v[2:3], v[44:45]
	s_wait_dscnt 0x0
	s_delay_alu instid0(VALU_DEP_1)
	v_fmac_f64_e32 v[42:43], v[28:29], v[52:53]
	ds_store_b64 v38, v[42:43]
	v_add_nc_u32_e32 v38, v38, v40
	s_wait_xcnt 0x0
	s_and_not1_b32 exec_lo, exec_lo, s14
	s_cbranch_execnz .LBB0_28
	s_branch .LBB0_25
.LBB0_29:                               ;   in Loop: Header=BB0_11 Depth=1
	s_or_b32 exec_lo, exec_lo, s8
	s_wait_dscnt 0x0
	s_barrier_signal -1
	s_barrier_wait -1
	s_and_saveexec_b32 s8, s0
	s_cbranch_execz .LBB0_38
; %bb.30:                               ;   in Loop: Header=BB0_11 Depth=1
	global_load_u16 v0, v[14:15], off offset:16
	v_mov_b64_e32 v[6:7], v[16:17]
	v_dual_mov_b32 v5, s13 :: v_dual_add_nc_u32 v34, 0x200, v47
	s_mov_b32 s9, 0
	s_wait_loadcnt 0x0
	v_and_b32_e32 v4, 0xffff, v0
	s_delay_alu instid0(VALU_DEP_1)
	v_dual_mov_b32 v8, v49 :: v_dual_lshlrev_b32 v35, 7, v4
	v_mul_u32_u24_e32 v36, 0x60, v4
	s_branch .LBB0_32
.LBB0_31:                               ;   in Loop: Header=BB0_32 Depth=2
	s_or_b32 exec_lo, exec_lo, s10
	v_add_nc_u64_e32 v[6:7], v[6:7], v[4:5]
	v_dual_add_nc_u32 v8, v8, v35 :: v_dual_add_nc_u32 v34, v34, v36
	s_delay_alu instid0(VALU_DEP_2) | instskip(SKIP_1) | instid1(SALU_CYCLE_1)
	v_cmp_lt_u64_e64 s5, 2, v[6:7]
	s_or_b32 s9, s5, s9
	s_and_not1_b32 exec_lo, exec_lo, s9
	s_cbranch_execz .LBB0_38
.LBB0_32:                               ;   Parent Loop BB0_11 Depth=1
                                        ; =>  This Loop Header: Depth=2
                                        ;       Child Loop BB0_35 Depth 3
                                        ;         Child Loop BB0_37 Depth 4
	s_and_saveexec_b32 s10, s4
	s_cbranch_execz .LBB0_31
; %bb.33:                               ;   in Loop: Header=BB0_32 Depth=2
	global_load_u16 v0, v[14:15], off offset:14
	v_mov_b64_e32 v[26:27], v[10:11]
	v_dual_mov_b32 v25, s13 :: v_dual_mov_b32 v37, v8
	s_mov_b32 s11, 0
	s_wait_loadcnt 0x0
	v_and_b32_e32 v24, 0xffff, v0
	s_delay_alu instid0(VALU_DEP_1)
	v_lshlrev_b32_e32 v38, 5, v24
	s_branch .LBB0_35
.LBB0_34:                               ;   in Loop: Header=BB0_35 Depth=3
	s_or_b32 exec_lo, exec_lo, s12
	v_add_nc_u64_e32 v[26:27], v[26:27], v[24:25]
	v_add_nc_u32_e32 v37, v37, v38
	s_delay_alu instid0(VALU_DEP_2) | instskip(SKIP_1) | instid1(SALU_CYCLE_1)
	v_cmp_lt_u64_e64 s5, 3, v[26:27]
	s_or_b32 s11, s5, s11
	s_and_not1_b32 exec_lo, exec_lo, s11
	s_cbranch_execz .LBB0_31
.LBB0_35:                               ;   Parent Loop BB0_11 Depth=1
                                        ;     Parent Loop BB0_32 Depth=2
                                        ; =>    This Loop Header: Depth=3
                                        ;         Child Loop BB0_37 Depth 4
	s_wait_xcnt 0x0
	s_and_saveexec_b32 s12, s3
	s_cbranch_execz .LBB0_34
; %bb.36:                               ;   in Loop: Header=BB0_35 Depth=3
	global_load_u16 v30, v[14:15], off offset:12
	v_mul_lo_u32 v28, v26, 24
	v_mov_b64_e32 v[32:33], v[12:13]
	v_dual_mov_b32 v31, s13 :: v_dual_mov_b32 v39, 0
	s_mov_b32 s14, 0
	ds_load_2addr_b64 v[0:3], v28 offset0:128 offset1:129
	ds_load_b64 v[28:29], v28 offset:1040
	s_wait_loadcnt 0x0
	v_and_b32_e32 v30, 0xffff, v30
	s_delay_alu instid0(VALU_DEP_1)
	v_lshlrev_b32_e32 v40, 3, v30
.LBB0_37:                               ;   Parent Loop BB0_11 Depth=1
                                        ;     Parent Loop BB0_32 Depth=2
                                        ;       Parent Loop BB0_35 Depth=3
                                        ; =>      This Inner Loop Header: Depth=4
	v_add_nc_u32_e32 v41, v34, v39
	v_add_nc_u64_e32 v[32:33], v[32:33], v[30:31]
	ds_load_2addr_b64 v[42:45], v41 offset1:4
	v_cmp_lt_u64_e64 s5, 3, v[32:33]
	s_or_b32 s14, s5, s14
	s_wait_dscnt 0x0
	v_fma_f64 v[42:43], v[42:43], v[0:1], 0
	s_delay_alu instid0(VALU_DEP_1)
	v_fmac_f64_e32 v[42:43], v[44:45], v[2:3]
	ds_load_b64 v[44:45], v41 offset:64
	v_dual_add_nc_u32 v41, v37, v39 :: v_dual_add_nc_u32 v39, v39, v40
	s_wait_dscnt 0x0
	v_fmac_f64_e32 v[42:43], v[44:45], v[28:29]
	ds_store_b64 v41, v[42:43]
	s_wait_xcnt 0x0
	s_and_not1_b32 exec_lo, exec_lo, s14
	s_cbranch_execnz .LBB0_37
	s_branch .LBB0_34
.LBB0_38:                               ;   in Loop: Header=BB0_11 Depth=1
	s_or_b32 exec_lo, exec_lo, s8
	s_wait_dscnt 0x0
	s_barrier_signal -1
	s_barrier_wait -1
	s_and_saveexec_b32 s8, s1
	s_cbranch_execz .LBB0_47
; %bb.39:                               ;   in Loop: Header=BB0_11 Depth=1
	global_load_u16 v0, v[14:15], off offset:16
	v_mov_b64_e32 v[24:25], v[18:19]
	v_mov_b64_e32 v[26:27], v[16:17]
	v_dual_mov_b32 v5, s13 :: v_dual_add_nc_u32 v44, 0x200, v49
	s_mov_b32 s9, 0
	s_wait_loadcnt 0x0
	v_and_b32_e32 v4, 0xffff, v0
	s_delay_alu instid0(VALU_DEP_1)
	v_dual_mov_b32 v7, v9 :: v_dual_lshlrev_b32 v6, 7, v4
	s_branch .LBB0_41
.LBB0_40:                               ;   in Loop: Header=BB0_41 Depth=2
	s_or_b32 exec_lo, exec_lo, s10
	v_add_nc_u64_e32 v[26:27], v[26:27], v[4:5]
	v_add_nc_u64_e32 v[24:25], v[24:25], v[6:7]
	v_add_nc_u32_e32 v44, v44, v6
	s_delay_alu instid0(VALU_DEP_3) | instskip(SKIP_1) | instid1(SALU_CYCLE_1)
	v_cmp_lt_u64_e64 s5, 3, v[26:27]
	s_or_b32 s9, s5, s9
	s_and_not1_b32 exec_lo, exec_lo, s9
	s_cbranch_execz .LBB0_47
.LBB0_41:                               ;   Parent Loop BB0_11 Depth=1
                                        ; =>  This Loop Header: Depth=2
                                        ;       Child Loop BB0_44 Depth 3
                                        ;         Child Loop BB0_46 Depth 4
	s_and_saveexec_b32 s10, s4
	s_cbranch_execz .LBB0_40
; %bb.42:                               ;   in Loop: Header=BB0_41 Depth=2
	global_load_u16 v0, v[14:15], off offset:14
	v_mad_u32 v45, v26, 24, 0x400
	v_mov_b64_e32 v[32:33], v[24:25]
	v_mov_b64_e32 v[34:35], v[10:11]
	v_dual_mov_b32 v29, s13 :: v_dual_mov_b32 v31, v9
	v_dual_mov_b32 v52, v48 :: v_dual_mov_b32 v53, v44
	s_mov_b32 s11, 0
	s_wait_loadcnt 0x0
	v_and_b32_e32 v28, 0xffff, v0
	s_delay_alu instid0(VALU_DEP_1)
	v_lshlrev_b32_e32 v30, 5, v28
	s_branch .LBB0_44
.LBB0_43:                               ;   in Loop: Header=BB0_44 Depth=3
	s_or_b32 exec_lo, exec_lo, s12
	v_add_nc_u64_e32 v[34:35], v[34:35], v[28:29]
	v_add_nc_u64_e32 v[32:33], v[32:33], v[30:31]
	v_dual_add_nc_u32 v53, v53, v30 :: v_dual_add_nc_u32 v52, v52, v30
	s_delay_alu instid0(VALU_DEP_3) | instskip(SKIP_1) | instid1(SALU_CYCLE_1)
	v_cmp_lt_u64_e64 s5, 3, v[34:35]
	s_or_b32 s11, s5, s11
	s_and_not1_b32 exec_lo, exec_lo, s11
	s_cbranch_execz .LBB0_40
.LBB0_44:                               ;   Parent Loop BB0_11 Depth=1
                                        ;     Parent Loop BB0_41 Depth=2
                                        ; =>    This Loop Header: Depth=3
                                        ;         Child Loop BB0_46 Depth 4
	s_wait_xcnt 0x0
	s_and_saveexec_b32 s12, s3
	s_cbranch_execz .LBB0_43
; %bb.45:                               ;   in Loop: Header=BB0_44 Depth=3
	global_load_u16 v8, v[14:15], off offset:12
	ds_load_2addr_b64 v[0:3], v45 offset1:1
	ds_load_b64 v[36:37], v45 offset:16
	v_mov_b64_e32 v[40:41], v[32:33]
	v_mov_b64_e32 v[42:43], v[12:13]
	v_dual_mov_b32 v39, s13 :: v_dual_mov_b32 v54, 0
	s_mov_b32 s14, 0
	s_wait_loadcnt 0x0
	v_and_b32_e32 v38, 0xffff, v8
	s_delay_alu instid0(VALU_DEP_1)
	v_lshlrev_b32_e32 v8, 3, v38
.LBB0_46:                               ;   Parent Loop BB0_11 Depth=1
                                        ;     Parent Loop BB0_41 Depth=2
                                        ;       Parent Loop BB0_44 Depth=3
                                        ; =>      This Inner Loop Header: Depth=4
	global_load_b64 v[60:61], v[40:41], off
	v_add_nc_u32_e32 v55, v52, v54
	v_add_nc_u64_e32 v[42:43], v[42:43], v[38:39]
	s_wait_xcnt 0x0
	v_add_nc_u64_e32 v[40:41], v[40:41], v[8:9]
	ds_load_2addr_b64 v[56:59], v55 offset1:16
	v_cmp_lt_u64_e64 s5, 3, v[42:43]
	s_or_b32 s14, s5, s14
	s_wait_dscnt 0x0
	v_fma_f64 v[56:57], v[56:57], v[0:1], 0
	s_delay_alu instid0(VALU_DEP_1)
	v_fmac_f64_e32 v[56:57], v[58:59], v[2:3]
	ds_load_b64 v[58:59], v55 offset:256
	v_dual_add_nc_u32 v55, v53, v54 :: v_dual_add_nc_u32 v54, v54, v8
	s_wait_dscnt 0x0
	v_fmac_f64_e32 v[56:57], v[58:59], v[36:37]
	s_wait_loadcnt 0x0
	s_delay_alu instid0(VALU_DEP_1)
	v_mul_f64_e32 v[56:57], v[56:57], v[60:61]
	ds_store_b64 v55, v[56:57]
	s_and_not1_b32 exec_lo, exec_lo, s14
	s_cbranch_execnz .LBB0_46
	s_branch .LBB0_43
.LBB0_47:                               ;   in Loop: Header=BB0_11 Depth=1
	s_or_b32 exec_lo, exec_lo, s8
	s_wait_dscnt 0x0
	s_barrier_signal -1
	s_barrier_wait -1
	s_and_saveexec_b32 s8, s1
	s_cbranch_execz .LBB0_56
; %bb.48:                               ;   in Loop: Header=BB0_11 Depth=1
	global_load_u16 v0, v[14:15], off offset:16
	v_mov_b64_e32 v[26:27], v[16:17]
	v_mad_u32_u24 v8, v10, 24, v47
	v_mov_b32_e32 v25, s13
	s_mov_b32 s9, 0
	s_wait_loadcnt 0x0
	v_and_b32_e32 v24, 0xffff, v0
	s_delay_alu instid0(VALU_DEP_1)
	v_mul_u32_u24_e32 v36, 0x60, v24
	s_branch .LBB0_50
.LBB0_49:                               ;   in Loop: Header=BB0_50 Depth=2
	s_or_b32 exec_lo, exec_lo, s10
	v_add_nc_u64_e32 v[26:27], v[26:27], v[24:25]
	v_add_nc_u32_e32 v8, v8, v36
	s_delay_alu instid0(VALU_DEP_2) | instskip(SKIP_1) | instid1(SALU_CYCLE_1)
	v_cmp_lt_u64_e64 s5, 3, v[26:27]
	s_or_b32 s9, s5, s9
	s_and_not1_b32 exec_lo, exec_lo, s9
	s_cbranch_execz .LBB0_56
.LBB0_50:                               ;   Parent Loop BB0_11 Depth=1
                                        ; =>  This Loop Header: Depth=2
                                        ;       Child Loop BB0_53 Depth 3
                                        ;         Child Loop BB0_55 Depth 4
	s_and_saveexec_b32 s10, s4
	s_cbranch_execz .LBB0_49
; %bb.51:                               ;   in Loop: Header=BB0_50 Depth=2
	global_load_u16 v0, v[14:15], off offset:14
	v_mov_b64_e32 v[30:31], v[10:11]
	v_lshl_add_u32 v37, v26, 7, 0x200
	v_dual_mov_b32 v29, s13 :: v_dual_mov_b32 v38, v8
	s_mov_b32 s11, 0
	s_wait_loadcnt 0x0
	v_and_b32_e32 v28, 0xffff, v0
	s_delay_alu instid0(VALU_DEP_1)
	v_mul_u32_u24_e32 v39, 24, v28
	s_branch .LBB0_53
.LBB0_52:                               ;   in Loop: Header=BB0_53 Depth=3
	s_or_b32 exec_lo, exec_lo, s12
	v_add_nc_u64_e32 v[30:31], v[30:31], v[28:29]
	v_add_nc_u32_e32 v38, v38, v39
	s_delay_alu instid0(VALU_DEP_2) | instskip(SKIP_1) | instid1(SALU_CYCLE_1)
	v_cmp_lt_u64_e64 s5, 3, v[30:31]
	s_or_b32 s11, s5, s11
	s_and_not1_b32 exec_lo, exec_lo, s11
	s_cbranch_execz .LBB0_49
.LBB0_53:                               ;   Parent Loop BB0_11 Depth=1
                                        ;     Parent Loop BB0_50 Depth=2
                                        ; =>    This Loop Header: Depth=3
                                        ;         Child Loop BB0_55 Depth 4
	s_wait_xcnt 0x0
	s_and_saveexec_b32 s12, s2
	s_cbranch_execz .LBB0_52
; %bb.54:                               ;   in Loop: Header=BB0_53 Depth=3
	global_load_u16 v32, v[14:15], off offset:12
	v_lshl_add_u32 v4, v30, 5, v37
	v_mov_b64_e32 v[34:35], v[12:13]
	v_lshl_add_u32 v41, v12, 5, 0x460
	v_dual_mov_b32 v33, s13 :: v_dual_mov_b32 v40, v38
	ds_load_b128 v[0:3], v4
	ds_load_b128 v[4:7], v4 offset:16
	s_mov_b32 s14, 0
	s_wait_loadcnt 0x0
	v_and_b32_e32 v32, 0xffff, v32
	s_delay_alu instid0(VALU_DEP_1)
	v_dual_lshlrev_b32 v42, 3, v32 :: v_dual_lshlrev_b32 v43, 5, v32
.LBB0_55:                               ;   Parent Loop BB0_11 Depth=1
                                        ;     Parent Loop BB0_50 Depth=2
                                        ;       Parent Loop BB0_53 Depth=3
                                        ; =>      This Inner Loop Header: Depth=4
	ds_load_b128 v[52:55], v41
	ds_load_b128 v[56:59], v41 offset:16
	v_add_nc_u64_e32 v[34:35], v[34:35], v[32:33]
	v_add_nc_u32_e32 v41, v41, v43
	s_delay_alu instid0(VALU_DEP_2) | instskip(SKIP_3) | instid1(VALU_DEP_1)
	v_cmp_lt_u64_e64 s5, 2, v[34:35]
	s_or_b32 s14, s5, s14
	s_wait_dscnt 0x1
	v_fma_f64 v[44:45], v[0:1], v[52:53], 0
	v_fmac_f64_e32 v[44:45], v[2:3], v[54:55]
	s_wait_dscnt 0x0
	s_delay_alu instid0(VALU_DEP_1) | instskip(NEXT) | instid1(VALU_DEP_1)
	v_fmac_f64_e32 v[44:45], v[4:5], v[56:57]
	v_fmac_f64_e32 v[44:45], v[6:7], v[58:59]
	ds_store_b64 v40, v[44:45]
	v_add_nc_u32_e32 v40, v40, v42
	s_wait_xcnt 0x0
	s_and_not1_b32 exec_lo, exec_lo, s14
	s_cbranch_execnz .LBB0_55
	s_branch .LBB0_52
.LBB0_56:                               ;   in Loop: Header=BB0_11 Depth=1
	s_or_b32 exec_lo, exec_lo, s8
	s_wait_dscnt 0x0
	s_barrier_signal -1
	s_barrier_wait -1
	s_and_saveexec_b32 s8, s1
	s_cbranch_execz .LBB0_65
; %bb.57:                               ;   in Loop: Header=BB0_11 Depth=1
	global_load_u16 v0, v[14:15], off offset:16
	v_mov_b64_e32 v[26:27], v[16:17]
	v_dual_mov_b32 v25, s13 :: v_dual_add_nc_u32 v36, 0x200, v46
	v_mov_b32_e32 v8, v47
	s_mov_b32 s9, 0
	s_wait_loadcnt 0x0
	v_and_b32_e32 v24, 0xffff, v0
	s_delay_alu instid0(VALU_DEP_1)
	v_mul_u32_u24_e32 v37, 0x48, v24
	v_mul_u32_u24_e32 v38, 0x60, v24
	s_branch .LBB0_59
.LBB0_58:                               ;   in Loop: Header=BB0_59 Depth=2
	s_or_b32 exec_lo, exec_lo, s10
	v_add_nc_u64_e32 v[26:27], v[26:27], v[24:25]
	v_add_nc_u32_e32 v36, v36, v37
	v_add_nc_u32_e32 v8, v8, v38
	s_delay_alu instid0(VALU_DEP_3) | instskip(SKIP_1) | instid1(SALU_CYCLE_1)
	v_cmp_lt_u64_e64 s5, 3, v[26:27]
	s_or_b32 s9, s5, s9
	s_and_not1_b32 exec_lo, exec_lo, s9
	s_cbranch_execz .LBB0_65
.LBB0_59:                               ;   Parent Loop BB0_11 Depth=1
                                        ; =>  This Loop Header: Depth=2
                                        ;       Child Loop BB0_62 Depth 3
                                        ;         Child Loop BB0_64 Depth 4
	s_and_saveexec_b32 s10, vcc_lo
	s_cbranch_execz .LBB0_58
; %bb.60:                               ;   in Loop: Header=BB0_59 Depth=2
	global_load_u16 v0, v[14:15], off offset:14
	v_mov_b64_e32 v[30:31], v[10:11]
	v_dual_mov_b32 v29, s13 :: v_dual_mov_b32 v39, v36
	s_mov_b32 s11, 0
	s_wait_loadcnt 0x0
	v_and_b32_e32 v28, 0xffff, v0
	s_delay_alu instid0(VALU_DEP_1)
	v_mul_u32_u24_e32 v40, 24, v28
	s_branch .LBB0_62
.LBB0_61:                               ;   in Loop: Header=BB0_62 Depth=3
	s_or_b32 exec_lo, exec_lo, s12
	v_add_nc_u64_e32 v[30:31], v[30:31], v[28:29]
	v_add_nc_u32_e32 v39, v39, v40
	s_delay_alu instid0(VALU_DEP_2) | instskip(SKIP_1) | instid1(SALU_CYCLE_1)
	v_cmp_lt_u64_e64 s5, 2, v[30:31]
	s_or_b32 s11, s5, s11
	s_and_not1_b32 exec_lo, exec_lo, s11
	s_cbranch_execz .LBB0_58
.LBB0_62:                               ;   Parent Loop BB0_11 Depth=1
                                        ;     Parent Loop BB0_59 Depth=2
                                        ; =>    This Loop Header: Depth=3
                                        ;         Child Loop BB0_64 Depth 4
	s_wait_xcnt 0x0
	s_and_saveexec_b32 s12, s2
	s_cbranch_execz .LBB0_61
; %bb.63:                               ;   in Loop: Header=BB0_62 Depth=3
	global_load_u16 v32, v[14:15], off offset:12
	v_dual_mov_b32 v33, s13 :: v_dual_lshlrev_b32 v4, 5, v30
	v_mov_b64_e32 v[34:35], v[12:13]
	s_mov_b32 s14, 0
	ds_load_b128 v[0:3], v4 offset:1120
	ds_load_b128 v[4:7], v4 offset:1136
	s_wait_loadcnt 0x0
	v_and_b32_e32 v32, 0xffff, v32
	s_delay_alu instid0(VALU_DEP_1)
	v_dual_mov_b32 v41, 0 :: v_dual_lshlrev_b32 v42, 3, v32
.LBB0_64:                               ;   Parent Loop BB0_11 Depth=1
                                        ;     Parent Loop BB0_59 Depth=2
                                        ;       Parent Loop BB0_62 Depth=3
                                        ; =>      This Inner Loop Header: Depth=4
	s_delay_alu instid0(VALU_DEP_1)
	v_add_nc_u32_e32 v43, v8, v41
	v_add_nc_u64_e32 v[34:35], v[34:35], v[32:33]
	ds_load_2addr_b64 v[52:55], v43 offset1:3
	v_cmp_lt_u64_e64 s5, 2, v[34:35]
	s_or_b32 s14, s5, s14
	s_wait_dscnt 0x0
	v_fma_f64 v[44:45], v[52:53], v[0:1], 0
	s_delay_alu instid0(VALU_DEP_1) | instskip(SKIP_4) | instid1(VALU_DEP_1)
	v_fmac_f64_e32 v[44:45], v[54:55], v[2:3]
	ds_load_2addr_b64 v[52:55], v43 offset0:6 offset1:9
	v_dual_add_nc_u32 v43, v39, v41 :: v_dual_add_nc_u32 v41, v41, v42
	s_wait_dscnt 0x0
	v_fmac_f64_e32 v[44:45], v[52:53], v[4:5]
	v_fmac_f64_e32 v[44:45], v[54:55], v[6:7]
	ds_store_b64 v43, v[44:45]
	s_wait_xcnt 0x0
	s_and_not1_b32 exec_lo, exec_lo, s14
	s_cbranch_execnz .LBB0_64
	s_branch .LBB0_61
.LBB0_65:                               ;   in Loop: Header=BB0_11 Depth=1
	s_or_b32 exec_lo, exec_lo, s8
	s_wait_dscnt 0x0
	s_barrier_signal -1
	s_barrier_wait -1
	s_and_saveexec_b32 s8, s0
	s_cbranch_execz .LBB0_10
; %bb.66:                               ;   in Loop: Header=BB0_11 Depth=1
	global_load_u16 v0, v[14:15], off offset:16
	v_mov_b64_e32 v[26:27], v[22:23]
	v_mov_b64_e32 v[30:31], v[16:17]
	v_mov_b32_e32 v25, s13
	s_mov_b32 s9, 0
	s_wait_loadcnt 0x0
	v_and_b32_e32 v24, 0xffff, v0
	s_delay_alu instid0(VALU_DEP_1)
	v_mul_hi_u32_u24_e32 v29, 0x48, v24
	v_mul_u32_u24_e32 v28, 0x48, v24
	s_branch .LBB0_68
.LBB0_67:                               ;   in Loop: Header=BB0_68 Depth=2
	s_or_b32 exec_lo, exec_lo, s10
	v_add_nc_u64_e32 v[30:31], v[30:31], v[24:25]
	v_add_nc_u64_e32 v[26:27], v[26:27], v[28:29]
	s_delay_alu instid0(VALU_DEP_2) | instskip(SKIP_1) | instid1(SALU_CYCLE_1)
	v_cmp_lt_u64_e64 s5, 2, v[30:31]
	s_or_b32 s9, s5, s9
	s_and_not1_b32 exec_lo, exec_lo, s9
	s_cbranch_execz .LBB0_10
.LBB0_68:                               ;   Parent Loop BB0_11 Depth=1
                                        ; =>  This Loop Header: Depth=2
                                        ;       Child Loop BB0_71 Depth 3
                                        ;         Child Loop BB0_73 Depth 4
	s_and_saveexec_b32 s10, vcc_lo
	s_cbranch_execz .LBB0_67
; %bb.69:                               ;   in Loop: Header=BB0_68 Depth=2
	global_load_u16 v0, v[14:15], off offset:14
	v_mov_b64_e32 v[34:35], v[26:27]
	v_mov_b64_e32 v[38:39], v[10:11]
	v_lshl_add_u32 v52, v30, 5, 0x460
	v_dual_mov_b32 v33, s13 :: v_dual_mov_b32 v53, v51
	s_mov_b32 s11, 0
	s_wait_loadcnt 0x0
	v_and_b32_e32 v32, 0xffff, v0
	s_delay_alu instid0(VALU_DEP_1)
	v_mul_hi_u32_u24_e32 v37, 24, v32
	v_mul_u32_u24_e32 v36, 24, v32
	s_branch .LBB0_71
.LBB0_70:                               ;   in Loop: Header=BB0_71 Depth=3
	s_or_b32 exec_lo, exec_lo, s12
	v_add_nc_u64_e32 v[38:39], v[38:39], v[32:33]
	v_add_nc_u64_e32 v[34:35], v[34:35], v[36:37]
	v_add_nc_u32_e32 v53, v53, v36
	s_delay_alu instid0(VALU_DEP_3) | instskip(SKIP_1) | instid1(SALU_CYCLE_1)
	v_cmp_lt_u64_e64 s5, 2, v[38:39]
	s_or_b32 s11, s5, s11
	s_and_not1_b32 exec_lo, exec_lo, s11
	s_cbranch_execz .LBB0_67
.LBB0_71:                               ;   Parent Loop BB0_11 Depth=1
                                        ;     Parent Loop BB0_68 Depth=2
                                        ; =>    This Loop Header: Depth=3
                                        ;         Child Loop BB0_73 Depth 4
	s_wait_xcnt 0x0
	s_and_saveexec_b32 s12, s2
	s_cbranch_execz .LBB0_70
; %bb.72:                               ;   in Loop: Header=BB0_71 Depth=3
	global_load_u16 v8, v[14:15], off offset:12
	ds_load_b128 v[0:3], v52
	ds_load_b128 v[4:7], v52 offset:16
	v_mov_b64_e32 v[42:43], v[34:35]
	v_mov_b64_e32 v[44:45], v[12:13]
	v_dual_mov_b32 v41, s13 :: v_dual_mov_b32 v54, v53
	s_mov_b32 s14, 0
	s_wait_loadcnt 0x0
	v_and_b32_e32 v40, 0xffff, v8
	s_delay_alu instid0(VALU_DEP_1)
	v_lshlrev_b32_e32 v8, 3, v40
.LBB0_73:                               ;   Parent Loop BB0_11 Depth=1
                                        ;     Parent Loop BB0_68 Depth=2
                                        ;       Parent Loop BB0_71 Depth=3
                                        ; =>      This Inner Loop Header: Depth=4
	ds_load_2addr_b64 v[56:59], v54 offset1:9
	v_add_nc_u64_e32 v[44:45], v[44:45], v[40:41]
	s_delay_alu instid0(VALU_DEP_1) | instskip(SKIP_3) | instid1(VALU_DEP_1)
	v_cmp_lt_u64_e64 s5, 2, v[44:45]
	s_or_b32 s14, s5, s14
	s_wait_dscnt 0x0
	v_fma_f64 v[60:61], v[56:57], v[0:1], 0
	v_fmac_f64_e32 v[60:61], v[58:59], v[2:3]
	ds_load_2addr_b64 v[56:59], v54 offset0:18 offset1:27
	v_add_nc_u32_e32 v54, v54, v8
	s_wait_dscnt 0x0
	v_fmac_f64_e32 v[60:61], v[56:57], v[4:5]
	s_delay_alu instid0(VALU_DEP_1)
	v_fmac_f64_e32 v[60:61], v[58:59], v[6:7]
	global_store_b64 v[42:43], v[60:61], off
	s_wait_xcnt 0x0
	v_add_nc_u64_e32 v[42:43], v[42:43], v[8:9]
	s_and_not1_b32 exec_lo, exec_lo, s14
	s_cbranch_execnz .LBB0_73
	s_branch .LBB0_70
.LBB0_74:
	s_endpgm
	.section	.rodata,"a",@progbits
	.p2align	6, 0x0
	.amdhsa_kernel _ZN8rajaperf4apps15MassVec3DPALoopILm64EEEvPdS2_S2_S2_
		.amdhsa_group_segment_fixed_size 1216
		.amdhsa_private_segment_fixed_size 0
		.amdhsa_kernarg_size 288
		.amdhsa_user_sgpr_count 2
		.amdhsa_user_sgpr_dispatch_ptr 0
		.amdhsa_user_sgpr_queue_ptr 0
		.amdhsa_user_sgpr_kernarg_segment_ptr 1
		.amdhsa_user_sgpr_dispatch_id 0
		.amdhsa_user_sgpr_kernarg_preload_length 0
		.amdhsa_user_sgpr_kernarg_preload_offset 0
		.amdhsa_user_sgpr_private_segment_size 0
		.amdhsa_wavefront_size32 1
		.amdhsa_uses_dynamic_stack 0
		.amdhsa_enable_private_segment 0
		.amdhsa_system_sgpr_workgroup_id_x 1
		.amdhsa_system_sgpr_workgroup_id_y 0
		.amdhsa_system_sgpr_workgroup_id_z 0
		.amdhsa_system_sgpr_workgroup_info 0
		.amdhsa_system_vgpr_workitem_id 2
		.amdhsa_next_free_vgpr 62
		.amdhsa_next_free_sgpr 19
		.amdhsa_named_barrier_count 0
		.amdhsa_reserve_vcc 1
		.amdhsa_float_round_mode_32 0
		.amdhsa_float_round_mode_16_64 0
		.amdhsa_float_denorm_mode_32 3
		.amdhsa_float_denorm_mode_16_64 3
		.amdhsa_fp16_overflow 0
		.amdhsa_memory_ordered 1
		.amdhsa_forward_progress 1
		.amdhsa_inst_pref_size 30
		.amdhsa_round_robin_scheduling 0
		.amdhsa_exception_fp_ieee_invalid_op 0
		.amdhsa_exception_fp_denorm_src 0
		.amdhsa_exception_fp_ieee_div_zero 0
		.amdhsa_exception_fp_ieee_overflow 0
		.amdhsa_exception_fp_ieee_underflow 0
		.amdhsa_exception_fp_ieee_inexact 0
		.amdhsa_exception_int_div_zero 0
	.end_amdhsa_kernel
	.section	.text._ZN8rajaperf4apps15MassVec3DPALoopILm64EEEvPdS2_S2_S2_,"axG",@progbits,_ZN8rajaperf4apps15MassVec3DPALoopILm64EEEvPdS2_S2_S2_,comdat
.Lfunc_end0:
	.size	_ZN8rajaperf4apps15MassVec3DPALoopILm64EEEvPdS2_S2_S2_, .Lfunc_end0-_ZN8rajaperf4apps15MassVec3DPALoopILm64EEEvPdS2_S2_S2_
                                        ; -- End function
	.set _ZN8rajaperf4apps15MassVec3DPALoopILm64EEEvPdS2_S2_S2_.num_vgpr, 62
	.set _ZN8rajaperf4apps15MassVec3DPALoopILm64EEEvPdS2_S2_S2_.num_agpr, 0
	.set _ZN8rajaperf4apps15MassVec3DPALoopILm64EEEvPdS2_S2_S2_.numbered_sgpr, 19
	.set _ZN8rajaperf4apps15MassVec3DPALoopILm64EEEvPdS2_S2_S2_.num_named_barrier, 0
	.set _ZN8rajaperf4apps15MassVec3DPALoopILm64EEEvPdS2_S2_S2_.private_seg_size, 0
	.set _ZN8rajaperf4apps15MassVec3DPALoopILm64EEEvPdS2_S2_S2_.uses_vcc, 1
	.set _ZN8rajaperf4apps15MassVec3DPALoopILm64EEEvPdS2_S2_S2_.uses_flat_scratch, 0
	.set _ZN8rajaperf4apps15MassVec3DPALoopILm64EEEvPdS2_S2_S2_.has_dyn_sized_stack, 0
	.set _ZN8rajaperf4apps15MassVec3DPALoopILm64EEEvPdS2_S2_S2_.has_recursion, 0
	.set _ZN8rajaperf4apps15MassVec3DPALoopILm64EEEvPdS2_S2_S2_.has_indirect_call, 0
	.section	.AMDGPU.csdata,"",@progbits
; Kernel info:
; codeLenInByte = 3756
; TotalNumSgprs: 21
; NumVgprs: 62
; ScratchSize: 0
; MemoryBound: 0
; FloatMode: 240
; IeeeMode: 1
; LDSByteSize: 1216 bytes/workgroup (compile time only)
; SGPRBlocks: 0
; VGPRBlocks: 3
; NumSGPRsForWavesPerEU: 21
; NumVGPRsForWavesPerEU: 62
; NamedBarCnt: 0
; Occupancy: 16
; WaveLimiterHint : 0
; COMPUTE_PGM_RSRC2:SCRATCH_EN: 0
; COMPUTE_PGM_RSRC2:USER_SGPR: 2
; COMPUTE_PGM_RSRC2:TRAP_HANDLER: 0
; COMPUTE_PGM_RSRC2:TGID_X_EN: 1
; COMPUTE_PGM_RSRC2:TGID_Y_EN: 0
; COMPUTE_PGM_RSRC2:TGID_Z_EN: 0
; COMPUTE_PGM_RSRC2:TIDIG_COMP_CNT: 2
	.section	.text._ZN4RAJA34launch_new_reduce_global_fcn_fixedIZN8rajaperf4apps11MASSVEC3DPA17runHipVariantImplILm64ELm0EEEvNS1_9VariantIDEEUlNS_14LaunchContextTINS_3hip33LaunchContextIndicesAndDimsPolicyINS7_14IndicesAndDimsILb0ELb0ELb0ELb0EEEEEEEE_Li64ENS_4expt15ForallParamPackIJEEEEEvT_T1_,"axG",@progbits,_ZN4RAJA34launch_new_reduce_global_fcn_fixedIZN8rajaperf4apps11MASSVEC3DPA17runHipVariantImplILm64ELm0EEEvNS1_9VariantIDEEUlNS_14LaunchContextTINS_3hip33LaunchContextIndicesAndDimsPolicyINS7_14IndicesAndDimsILb0ELb0ELb0ELb0EEEEEEEE_Li64ENS_4expt15ForallParamPackIJEEEEEvT_T1_,comdat
	.protected	_ZN4RAJA34launch_new_reduce_global_fcn_fixedIZN8rajaperf4apps11MASSVEC3DPA17runHipVariantImplILm64ELm0EEEvNS1_9VariantIDEEUlNS_14LaunchContextTINS_3hip33LaunchContextIndicesAndDimsPolicyINS7_14IndicesAndDimsILb0ELb0ELb0ELb0EEEEEEEE_Li64ENS_4expt15ForallParamPackIJEEEEEvT_T1_ ; -- Begin function _ZN4RAJA34launch_new_reduce_global_fcn_fixedIZN8rajaperf4apps11MASSVEC3DPA17runHipVariantImplILm64ELm0EEEvNS1_9VariantIDEEUlNS_14LaunchContextTINS_3hip33LaunchContextIndicesAndDimsPolicyINS7_14IndicesAndDimsILb0ELb0ELb0ELb0EEEEEEEE_Li64ENS_4expt15ForallParamPackIJEEEEEvT_T1_
	.globl	_ZN4RAJA34launch_new_reduce_global_fcn_fixedIZN8rajaperf4apps11MASSVEC3DPA17runHipVariantImplILm64ELm0EEEvNS1_9VariantIDEEUlNS_14LaunchContextTINS_3hip33LaunchContextIndicesAndDimsPolicyINS7_14IndicesAndDimsILb0ELb0ELb0ELb0EEEEEEEE_Li64ENS_4expt15ForallParamPackIJEEEEEvT_T1_
	.p2align	8
	.type	_ZN4RAJA34launch_new_reduce_global_fcn_fixedIZN8rajaperf4apps11MASSVEC3DPA17runHipVariantImplILm64ELm0EEEvNS1_9VariantIDEEUlNS_14LaunchContextTINS_3hip33LaunchContextIndicesAndDimsPolicyINS7_14IndicesAndDimsILb0ELb0ELb0ELb0EEEEEEEE_Li64ENS_4expt15ForallParamPackIJEEEEEvT_T1_,@function
_ZN4RAJA34launch_new_reduce_global_fcn_fixedIZN8rajaperf4apps11MASSVEC3DPA17runHipVariantImplILm64ELm0EEEvNS1_9VariantIDEEUlNS_14LaunchContextTINS_3hip33LaunchContextIndicesAndDimsPolicyINS7_14IndicesAndDimsILb0ELb0ELb0ELb0EEEEEEEE_Li64ENS_4expt15ForallParamPackIJEEEEEvT_T1_: ; @_ZN4RAJA34launch_new_reduce_global_fcn_fixedIZN8rajaperf4apps11MASSVEC3DPA17runHipVariantImplILm64ELm0EEEvNS1_9VariantIDEEUlNS_14LaunchContextTINS_3hip33LaunchContextIndicesAndDimsPolicyINS7_14IndicesAndDimsILb0ELb0ELb0ELb0EEEEEEEE_Li64ENS_4expt15ForallParamPackIJEEEEEvT_T1_
; %bb.0:
	s_load_b256 s[4:11], s[0:1], 0x0
	s_bfe_u32 s2, ttmp6, 0x4000c
	s_and_b32 s3, ttmp6, 15
	s_add_co_i32 s2, s2, 1
	s_getreg_b32 s18, hwreg(HW_REG_IB_STS2, 6, 4)
	s_mul_i32 s2, ttmp9, s2
	s_mov_b32 s13, 0
	s_add_co_i32 s3, s3, s2
	s_cmp_eq_u32 s18, 0
	s_mov_b32 s15, s13
	s_cselect_b32 s14, ttmp9, s3
	s_wait_kmcnt 0x0
	v_cmp_le_i64_e64 s2, s[4:5], s[14:15]
	s_and_b32 vcc_lo, exec_lo, s2
	s_cbranch_vccnz .LBB1_77
; %bb.1:
	s_clause 0x1
	s_load_b32 s2, s[0:1], 0x40
	s_load_b64 s[20:21], s[0:1], 0x20
	v_bfe_u32 v10, v0, 10, 10
	v_bfe_u32 v8, v0, 20, 10
	v_and_b32_e32 v12, 0x3ff, v0
                                        ; implicit-def: $vgpr2_vgpr3
                                        ; implicit-def: $vgpr4_vgpr5
	s_delay_alu instid0(VALU_DEP_3)
	v_lshlrev_b32_e32 v6, 5, v10
	s_wait_kmcnt 0x0
	s_and_b32 s12, s2, 0xffff
	s_mov_b32 s2, exec_lo
	v_cmpx_ne_u32_e32 0, v8
	s_xor_b32 s2, exec_lo, s2
; %bb.2:
	v_and_b32_e32 v12, 0x3ff, v0
	s_delay_alu instid0(VALU_DEP_1) | instskip(NEXT) | instid1(VALU_DEP_1)
	v_dual_mov_b32 v11, 0 :: v_dual_lshlrev_b32 v2, 3, v12
	v_dual_mov_b32 v7, v11 :: v_dual_mov_b32 v13, v11
	v_mov_b32_e32 v3, v11
	s_delay_alu instid0(VALU_DEP_2)
	v_mov_b64_e32 v[4:5], v[6:7]
                                        ; implicit-def: $vgpr6
; %bb.3:
	s_or_saveexec_b32 s4, s2
	s_add_nc_u64 s[16:17], s[0:1], 48
	s_xor_b32 exec_lo, exec_lo, s4
	s_cbranch_execz .LBB1_12
; %bb.4:
	v_dual_mov_b32 v7, 0 :: v_dual_lshlrev_b32 v2, 3, v12
	v_mul_u32_u24_e32 v14, 24, v12
	v_cmp_gt_u32_e64 s0, 3, v10
	v_cmp_gt_u32_e64 s1, 4, v12
	global_load_u16 v0, v7, s[16:17] offset:14
	v_dual_mov_b32 v3, v7 :: v_dual_lshlrev_b32 v18, 3, v10
	v_mov_b64_e32 v[4:5], v[6:7]
	v_dual_mov_b32 v1, v7 :: v_dual_mov_b32 v11, v7
	s_delay_alu instid0(VALU_DEP_3) | instskip(SKIP_4) | instid1(VALU_DEP_4)
	v_add_nc_u64_e32 v[16:17], v[6:7], v[2:3]
	v_dual_mov_b32 v13, v7 :: v_dual_mov_b32 v15, v7
	v_add3_u32 v9, v6, v2, 0x460
	v_add3_u32 v28, v14, v18, 0x400
	s_cmp_lg_u32 s12, 0
	v_add_nc_u64_e32 v[16:17], s[6:7], v[16:17]
	s_cselect_b32 s5, -1, 0
	s_wait_loadcnt 0x0
	v_and_b32_e32 v0, 0xffff, v0
	s_delay_alu instid0(VALU_DEP_1)
	v_dual_lshlrev_b32 v14, 5, v0 :: v_dual_lshlrev_b32 v29, 3, v0
	s_branch .LBB1_6
.LBB1_5:                                ;   in Loop: Header=BB1_6 Depth=1
	s_or_b32 exec_lo, exec_lo, s6
	s_delay_alu instid0(SALU_CYCLE_1)
	s_and_not1_b32 vcc_lo, exec_lo, s5
	s_cbranch_vccz .LBB1_12
.LBB1_6:                                ; =>This Loop Header: Depth=1
                                        ;     Child Loop BB1_9 Depth 2
                                        ;       Child Loop BB1_11 Depth 3
	s_and_saveexec_b32 s6, s0
	s_cbranch_execz .LBB1_5
; %bb.7:                                ;   in Loop: Header=BB1_6 Depth=1
	s_load_b32 s2, s[16:17], 0x0
	s_mov_b32 s3, 0
	v_mov_b64_e32 v[20:21], v[16:17]
	v_mov_b64_e32 v[22:23], v[10:11]
	v_dual_mov_b32 v31, v28 :: v_dual_mov_b32 v32, v9
	v_mov_b32_e32 v19, v7
	s_wait_kmcnt 0x0
	s_cmp_lt_u32 s14, s2
	s_cselect_b32 s2, 12, 18
	s_delay_alu instid0(SALU_CYCLE_1) | instskip(SKIP_3) | instid1(VALU_DEP_1)
	s_add_nc_u64 s[22:23], s[16:17], s[2:3]
	global_load_u16 v6, v7, s[22:23]
	s_wait_loadcnt 0x0
	v_and_b32_e32 v6, 0xffff, v6
	v_mul_lo_u32 v30, v6, 24
	v_lshlrev_b32_e32 v18, 3, v6
	s_branch .LBB1_9
.LBB1_8:                                ;   in Loop: Header=BB1_9 Depth=2
	s_or_b32 exec_lo, exec_lo, s2
	v_add_nc_u64_e32 v[22:23], v[22:23], v[0:1]
	v_add_nc_u64_e32 v[20:21], v[20:21], v[14:15]
	v_dual_add_nc_u32 v32, v32, v14 :: v_dual_add_nc_u32 v31, v31, v29
	s_delay_alu instid0(VALU_DEP_3) | instskip(SKIP_1) | instid1(SALU_CYCLE_1)
	v_cmp_lt_u64_e32 vcc_lo, 2, v[22:23]
	s_or_b32 s3, vcc_lo, s3
	s_and_not1_b32 exec_lo, exec_lo, s3
	s_cbranch_execz .LBB1_5
.LBB1_9:                                ;   Parent Loop BB1_6 Depth=1
                                        ; =>  This Loop Header: Depth=2
                                        ;       Child Loop BB1_11 Depth 3
	s_wait_xcnt 0x0
	s_and_saveexec_b32 s2, s1
	s_cbranch_execz .LBB1_8
; %bb.10:                               ;   in Loop: Header=BB1_9 Depth=2
	v_mov_b64_e32 v[24:25], v[20:21]
	v_mov_b64_e32 v[26:27], v[12:13]
	v_dual_mov_b32 v33, v31 :: v_dual_mov_b32 v34, v32
	s_mov_b32 s7, 0
.LBB1_11:                               ;   Parent Loop BB1_6 Depth=1
                                        ;     Parent Loop BB1_9 Depth=2
                                        ; =>    This Inner Loop Header: Depth=3
	global_load_b64 v[36:37], v[24:25], off
	v_add_nc_u64_e32 v[26:27], v[26:27], v[6:7]
	s_wait_xcnt 0x0
	v_add_nc_u64_e32 v[24:25], v[24:25], v[18:19]
	s_wait_loadcnt 0x0
	ds_store_b64 v33, v[36:37]
	ds_store_b64 v34, v[36:37]
	v_cmp_lt_u64_e32 vcc_lo, 3, v[26:27]
	v_add_nc_u32_e32 v34, v34, v18
	v_add_nc_u32_e32 v33, v33, v30
	s_or_b32 s7, vcc_lo, s7
	s_delay_alu instid0(SALU_CYCLE_1)
	s_and_not1_b32 exec_lo, exec_lo, s7
	s_cbranch_execnz .LBB1_11
	s_branch .LBB1_8
.LBB1_12:
	s_or_b32 exec_lo, exec_lo, s4
	v_mul_hi_u32_u24_e32 v1, 0x48, v8
	v_mul_u32_u24_e32 v0, 0x48, v8
	v_mul_lo_u32 v16, v10, 24
	v_dual_mov_b32 v9, 0 :: v_dual_lshlrev_b32 v17, 3, v12
	s_bfe_u32 s0, ttmp6, 0x40010
	s_delay_alu instid0(VALU_DEP_3)
	v_mad_nc_u64_u32 v[0:1], 0x288, s14, v[0:1]
	s_add_co_i32 s2, s0, 1
	s_bfe_u32 s1, ttmp6, 0x40004
	s_mul_i32 s2, ttmp7, s2
	v_cmp_gt_u32_e32 vcc_lo, 3, v8
	v_cmp_gt_u32_e64 s0, 4, v8
	v_mov_b64_e32 v[14:15], v[8:9]
	v_add_nc_u32_e32 v22, v16, v17
	s_add_co_i32 s1, s1, s2
	v_mad_u32_u24 v39, 0x60, v8, v17
	s_cmp_eq_u32 s18, 0
	v_mad_nc_u64_u32 v[0:1], v10, 24, v[0:1]
	v_mad_u32_u24 v38, 0x48, v8, v22
	v_lshlrev_b32_e32 v8, 7, v8
	s_cselect_b32 s24, ttmp7, s1
	s_lshl_b64 s[2:3], s[14:15], 9
	v_lshlrev_b32_e32 v18, 5, v10
	v_mad_u32 v41, v12, 24, 0x400
	v_add_nc_u64_e32 v[6:7], s[2:3], v[8:9]
	v_add_nc_u32_e32 v46, v39, v16
	v_cmp_gt_u32_e64 s1, 3, v10
	v_add_nc_u32_e32 v40, v18, v17
	v_mad_u32 v1, v11, 24, v1
	v_cmp_gt_u32_e64 s2, 3, v12
	v_cmp_gt_u32_e64 s3, 4, v12
	v_add_nc_u64_e32 v[4:5], v[6:7], v[4:5]
	v_add_nc_u32_e32 v42, v40, v8
	v_add3_u32 v44, v39, v18, 0x200
	v_cmp_gt_u32_e64 s4, 4, v10
	v_lshl_add_u32 v43, v12, 5, 0x460
	v_add_nc_u32_e32 v45, 0x200, v39
	v_add_nc_u32_e32 v47, 0x200, v42
	v_add_nc_u64_e32 v[4:5], v[4:5], v[2:3]
	v_add_nc_u64_e32 v[0:1], v[0:1], v[2:3]
	v_add_nc_u32_e32 v48, 0x200, v38
	v_add_nc_u32_e32 v49, 0x200, v22
	s_mov_b32 s7, 0
	s_mul_u64 s[18:19], s[12:13], 0x48
	s_mul_i32 s15, s12, 0x48
	v_add_nc_u64_e32 v[16:17], s[10:11], v[4:5]
	v_add_nc_u64_e32 v[18:19], s[8:9], v[0:1]
	;; [unrolled: 1-line block ×3, first 2 shown]
	s_mul_i32 s25, s12, 0x60
	s_lshl_b32 s8, s12, 7
	s_mov_b32 s9, s7
	s_mov_b64 s[10:11], 0
	s_branch .LBB1_14
.LBB1_13:                               ;   in Loop: Header=BB1_14 Depth=1
	s_or_b32 exec_lo, exec_lo, s26
	v_add_nc_u64_e32 v[18:19], 0xd8, v[18:19]
	v_add_nc_u64_e32 v[20:21], 0xd8, v[20:21]
	s_add_nc_u64 s[10:11], s[10:11], 1
	s_wait_storecnt 0x0
	s_cmp_lg_u64 s[10:11], 3
	s_barrier_signal -1
	s_barrier_wait -1
	s_cbranch_scc0 .LBB1_77
.LBB1_14:                               ; =>This Loop Header: Depth=1
                                        ;     Child Loop BB1_17 Depth 2
                                        ;       Child Loop BB1_20 Depth 3
                                        ;         Child Loop BB1_22 Depth 4
                                        ;     Child Loop BB1_26 Depth 2
                                        ;       Child Loop BB1_29 Depth 3
                                        ;         Child Loop BB1_31 Depth 4
	;; [unrolled: 3-line block ×7, first 2 shown]
	s_and_saveexec_b32 s6, vcc_lo
	s_cbranch_execz .LBB1_23
; %bb.15:                               ;   in Loop: Header=BB1_14 Depth=1
	s_load_b32 s5, s[16:17], 0x4
	s_mov_b32 s21, 0
	v_dual_mov_b32 v1, v9 :: v_dual_mov_b32 v33, v38
	v_mov_b64_e32 v[4:5], v[18:19]
	v_mov_b64_e32 v[6:7], v[14:15]
	s_wait_kmcnt 0x0
	s_cmp_lt_u32 s24, s5
	s_cselect_b32 s20, 14, 20
	s_delay_alu instid0(SALU_CYCLE_1) | instskip(SKIP_3) | instid1(VALU_DEP_1)
	s_add_nc_u64 s[22:23], s[16:17], s[20:21]
	global_load_u16 v0, v9, s[22:23]
	s_wait_loadcnt 0x0
	v_and_b32_e32 v0, 0xffff, v0
	v_mul_u64_e32 v[2:3], 24, v[0:1]
	v_mul_lo_u32 v32, v0, 24
	s_branch .LBB1_17
.LBB1_16:                               ;   in Loop: Header=BB1_17 Depth=2
	s_or_b32 exec_lo, exec_lo, s20
	v_add_nc_u64_e32 v[6:7], s[12:13], v[6:7]
	v_add_nc_u64_e32 v[4:5], s[18:19], v[4:5]
	v_add_nc_u32_e32 v33, s15, v33
	s_delay_alu instid0(VALU_DEP_3) | instskip(SKIP_1) | instid1(SALU_CYCLE_1)
	v_cmp_lt_u64_e64 s5, 2, v[6:7]
	s_or_b32 s21, s5, s21
	s_and_not1_b32 exec_lo, exec_lo, s21
	s_cbranch_execz .LBB1_23
.LBB1_17:                               ;   Parent Loop BB1_14 Depth=1
                                        ; =>  This Loop Header: Depth=2
                                        ;       Child Loop BB1_20 Depth 3
                                        ;         Child Loop BB1_22 Depth 4
	s_wait_xcnt 0x0
	s_and_saveexec_b32 s20, s1
	s_cbranch_execz .LBB1_16
; %bb.18:                               ;   in Loop: Header=BB1_17 Depth=2
	s_load_b32 s5, s[16:17], 0x0
	s_mov_b32 s23, 0
	v_mov_b64_e32 v[24:25], v[4:5]
	v_mov_b64_e32 v[26:27], v[10:11]
	v_dual_mov_b32 v23, v9 :: v_dual_mov_b32 v34, v33
	s_wait_kmcnt 0x0
	s_cmp_lt_u32 s14, s5
	s_cselect_b32 s22, 12, 18
	s_delay_alu instid0(SALU_CYCLE_1) | instskip(SKIP_3) | instid1(VALU_DEP_1)
	s_add_nc_u64 s[26:27], s[16:17], s[22:23]
	global_load_u16 v8, v9, s[26:27]
	s_wait_loadcnt 0x0
	v_and_b32_e32 v8, 0xffff, v8
	v_lshlrev_b32_e32 v22, 3, v8
	s_branch .LBB1_20
.LBB1_19:                               ;   in Loop: Header=BB1_20 Depth=3
	s_or_b32 exec_lo, exec_lo, s22
	v_add_nc_u64_e32 v[26:27], v[26:27], v[0:1]
	v_add_nc_u64_e32 v[24:25], v[24:25], v[2:3]
	v_add_nc_u32_e32 v34, v34, v32
	s_delay_alu instid0(VALU_DEP_3) | instskip(SKIP_1) | instid1(SALU_CYCLE_1)
	v_cmp_lt_u64_e64 s5, 2, v[26:27]
	s_or_b32 s23, s5, s23
	s_and_not1_b32 exec_lo, exec_lo, s23
	s_cbranch_execz .LBB1_16
.LBB1_20:                               ;   Parent Loop BB1_14 Depth=1
                                        ;     Parent Loop BB1_17 Depth=2
                                        ; =>    This Loop Header: Depth=3
                                        ;         Child Loop BB1_22 Depth 4
	s_wait_xcnt 0x0
	s_and_saveexec_b32 s22, s2
	s_cbranch_execz .LBB1_19
; %bb.21:                               ;   in Loop: Header=BB1_20 Depth=3
	v_mov_b64_e32 v[28:29], v[24:25]
	v_mov_b64_e32 v[30:31], v[12:13]
	v_mov_b32_e32 v35, v34
	s_mov_b32 s26, 0
.LBB1_22:                               ;   Parent Loop BB1_14 Depth=1
                                        ;     Parent Loop BB1_17 Depth=2
                                        ;       Parent Loop BB1_20 Depth=3
                                        ; =>      This Inner Loop Header: Depth=4
	global_load_b64 v[36:37], v[28:29], off
	v_add_nc_u64_e32 v[30:31], v[30:31], v[8:9]
	s_wait_xcnt 0x0
	v_add_nc_u64_e32 v[28:29], v[28:29], v[22:23]
	s_delay_alu instid0(VALU_DEP_2)
	v_cmp_lt_u64_e64 s5, 2, v[30:31]
	s_or_b32 s26, s5, s26
	s_wait_loadcnt 0x0
	ds_store_b64 v35, v[36:37]
	v_add_nc_u32_e32 v35, v35, v22
	s_and_not1_b32 exec_lo, exec_lo, s26
	s_cbranch_execnz .LBB1_22
	s_branch .LBB1_19
.LBB1_23:                               ;   in Loop: Header=BB1_14 Depth=1
	s_or_b32 exec_lo, exec_lo, s6
	s_wait_dscnt 0x0
	s_barrier_signal -1
	s_barrier_wait -1
	s_and_saveexec_b32 s6, vcc_lo
	s_cbranch_execz .LBB1_32
; %bb.24:                               ;   in Loop: Header=BB1_14 Depth=1
	s_load_b32 s5, s[16:17], 0x4
	s_mov_b32 s21, 0
	v_mov_b64_e32 v[6:7], v[14:15]
	v_dual_mov_b32 v5, v9 :: v_dual_mov_b32 v28, v44
	s_wait_kmcnt 0x0
	s_cmp_lt_u32 s24, s5
	s_cselect_b32 s20, 14, 20
	s_delay_alu instid0(SALU_CYCLE_1) | instskip(SKIP_3) | instid1(VALU_DEP_1)
	s_add_nc_u64 s[22:23], s[16:17], s[20:21]
	global_load_u16 v0, v9, s[22:23]
	s_wait_loadcnt 0x0
	v_and_b32_e32 v4, 0xffff, v0
	v_lshlrev_b32_e32 v29, 5, v4
	s_branch .LBB1_26
.LBB1_25:                               ;   in Loop: Header=BB1_26 Depth=2
	s_or_b32 exec_lo, exec_lo, s20
	v_add_nc_u64_e32 v[6:7], s[12:13], v[6:7]
	v_add_nc_u32_e32 v28, s25, v28
	s_delay_alu instid0(VALU_DEP_2) | instskip(SKIP_1) | instid1(SALU_CYCLE_1)
	v_cmp_lt_u64_e64 s5, 2, v[6:7]
	s_or_b32 s21, s5, s21
	s_and_not1_b32 exec_lo, exec_lo, s21
	s_cbranch_execz .LBB1_32
.LBB1_26:                               ;   Parent Loop BB1_14 Depth=1
                                        ; =>  This Loop Header: Depth=2
                                        ;       Child Loop BB1_29 Depth 3
                                        ;         Child Loop BB1_31 Depth 4
	s_wait_xcnt 0x0
	s_and_saveexec_b32 s20, s1
	s_cbranch_execz .LBB1_25
; %bb.27:                               ;   in Loop: Header=BB1_26 Depth=2
	s_load_b32 s5, s[16:17], 0x0
	s_mov_b32 s23, 0
	v_mul_lo_u32 v30, 0x48, v6
	v_mov_b64_e32 v[22:23], v[10:11]
	v_mov_b32_e32 v33, v28
	s_wait_kmcnt 0x0
	s_cmp_lt_u32 s14, s5
	s_cselect_b32 s22, 12, 18
	s_delay_alu instid0(SALU_CYCLE_1) | instskip(SKIP_3) | instid1(VALU_DEP_1)
	s_add_nc_u64 s[26:27], s[16:17], s[22:23]
	global_load_u16 v0, v9, s[26:27]
	s_wait_loadcnt 0x0
	v_and_b32_e32 v8, 0xffff, v0
	v_mul_lo_u32 v31, v8, 24
	v_lshlrev_b32_e32 v32, 3, v8
	s_branch .LBB1_29
.LBB1_28:                               ;   in Loop: Header=BB1_29 Depth=3
	s_or_b32 exec_lo, exec_lo, s22
	v_add_nc_u64_e32 v[22:23], v[22:23], v[4:5]
	v_add_nc_u32_e32 v33, v33, v29
	s_delay_alu instid0(VALU_DEP_2) | instskip(SKIP_1) | instid1(SALU_CYCLE_1)
	v_cmp_lt_u64_e64 s5, 2, v[22:23]
	s_or_b32 s23, s5, s23
	s_and_not1_b32 exec_lo, exec_lo, s23
	s_cbranch_execz .LBB1_25
.LBB1_29:                               ;   Parent Loop BB1_14 Depth=1
                                        ;     Parent Loop BB1_26 Depth=2
                                        ; =>    This Loop Header: Depth=3
                                        ;         Child Loop BB1_31 Depth 4
	s_wait_xcnt 0x0
	s_and_saveexec_b32 s22, s3
	s_cbranch_execz .LBB1_28
; %bb.30:                               ;   in Loop: Header=BB1_29 Depth=3
	v_mad_u32 v24, v22, 24, v30
	v_mov_b64_e32 v[26:27], v[12:13]
	v_dual_mov_b32 v34, v41 :: v_dual_mov_b32 v35, v33
	s_mov_b32 s26, 0
	ds_load_2addr_b64 v[0:3], v24 offset1:1
	ds_load_b64 v[24:25], v24 offset:16
.LBB1_31:                               ;   Parent Loop BB1_14 Depth=1
                                        ;     Parent Loop BB1_26 Depth=2
                                        ;       Parent Loop BB1_29 Depth=3
                                        ; =>      This Inner Loop Header: Depth=4
	ds_load_2addr_b64 v[50:53], v34 offset1:1
	ds_load_b64 v[36:37], v34 offset:16
	v_add_nc_u64_e32 v[26:27], v[26:27], v[8:9]
	v_add_nc_u32_e32 v34, v34, v31
	s_delay_alu instid0(VALU_DEP_2) | instskip(SKIP_3) | instid1(VALU_DEP_1)
	v_cmp_lt_u64_e64 s5, 3, v[26:27]
	s_or_b32 s26, s5, s26
	s_wait_dscnt 0x1
	v_fma_f64 v[50:51], v[0:1], v[50:51], 0
	v_fmac_f64_e32 v[50:51], v[2:3], v[52:53]
	s_wait_dscnt 0x0
	s_delay_alu instid0(VALU_DEP_1)
	v_fmac_f64_e32 v[50:51], v[24:25], v[36:37]
	ds_store_b64 v35, v[50:51]
	v_add_nc_u32_e32 v35, v35, v32
	s_and_not1_b32 exec_lo, exec_lo, s26
	s_cbranch_execnz .LBB1_31
	s_branch .LBB1_28
.LBB1_32:                               ;   in Loop: Header=BB1_14 Depth=1
	s_or_b32 exec_lo, exec_lo, s6
	s_wait_dscnt 0x0
	s_barrier_signal -1
	s_barrier_wait -1
	s_and_saveexec_b32 s6, vcc_lo
	s_cbranch_execz .LBB1_41
; %bb.33:                               ;   in Loop: Header=BB1_14 Depth=1
	s_load_b32 s5, s[16:17], 0x4
	s_mov_b32 s21, 0
	v_mov_b64_e32 v[6:7], v[14:15]
	v_dual_mov_b32 v5, v9 :: v_dual_mov_b32 v28, v45
	s_wait_kmcnt 0x0
	s_cmp_lt_u32 s24, s5
	s_cselect_b32 s20, 14, 20
	s_delay_alu instid0(SALU_CYCLE_1) | instskip(SKIP_3) | instid1(VALU_DEP_1)
	s_add_nc_u64 s[22:23], s[16:17], s[20:21]
	global_load_u16 v0, v9, s[22:23]
	s_wait_loadcnt 0x0
	v_and_b32_e32 v4, 0xffff, v0
	v_dual_mov_b32 v29, v42 :: v_dual_lshlrev_b32 v30, 5, v4
	s_branch .LBB1_35
.LBB1_34:                               ;   in Loop: Header=BB1_35 Depth=2
	s_or_b32 exec_lo, exec_lo, s20
	v_add_nc_u64_e32 v[6:7], s[12:13], v[6:7]
	v_dual_add_nc_u32 v29, s8, v29 :: v_dual_add_nc_u32 v28, s25, v28
	s_delay_alu instid0(VALU_DEP_2) | instskip(SKIP_1) | instid1(SALU_CYCLE_1)
	v_cmp_lt_u64_e64 s5, 2, v[6:7]
	s_or_b32 s21, s5, s21
	s_and_not1_b32 exec_lo, exec_lo, s21
	s_cbranch_execz .LBB1_41
.LBB1_35:                               ;   Parent Loop BB1_14 Depth=1
                                        ; =>  This Loop Header: Depth=2
                                        ;       Child Loop BB1_38 Depth 3
                                        ;         Child Loop BB1_40 Depth 4
	s_wait_xcnt 0x0
	s_and_saveexec_b32 s20, s4
	s_cbranch_execz .LBB1_34
; %bb.36:                               ;   in Loop: Header=BB1_35 Depth=2
	s_load_b32 s5, s[16:17], 0x0
	s_mov_b32 s23, 0
	v_mov_b64_e32 v[22:23], v[10:11]
	s_wait_kmcnt 0x0
	s_cmp_lt_u32 s14, s5
	s_cselect_b32 s22, 12, 18
	s_delay_alu instid0(SALU_CYCLE_1) | instskip(SKIP_3) | instid1(VALU_DEP_1)
	s_add_nc_u64 s[26:27], s[16:17], s[22:23]
	global_load_u16 v0, v9, s[26:27]
	s_wait_loadcnt 0x0
	v_and_b32_e32 v8, 0xffff, v0
	v_dual_mov_b32 v31, v29 :: v_dual_lshlrev_b32 v32, 3, v8
	s_branch .LBB1_38
.LBB1_37:                               ;   in Loop: Header=BB1_38 Depth=3
	s_or_b32 exec_lo, exec_lo, s22
	v_add_nc_u64_e32 v[22:23], v[22:23], v[4:5]
	v_add_nc_u32_e32 v31, v31, v30
	s_delay_alu instid0(VALU_DEP_2) | instskip(SKIP_1) | instid1(SALU_CYCLE_1)
	v_cmp_lt_u64_e64 s5, 3, v[22:23]
	s_or_b32 s23, s5, s23
	s_and_not1_b32 exec_lo, exec_lo, s23
	s_cbranch_execz .LBB1_34
.LBB1_38:                               ;   Parent Loop BB1_14 Depth=1
                                        ;     Parent Loop BB1_35 Depth=2
                                        ; =>    This Loop Header: Depth=3
                                        ;         Child Loop BB1_40 Depth 4
	s_wait_xcnt 0x0
	s_and_saveexec_b32 s22, s3
	s_cbranch_execz .LBB1_37
; %bb.39:                               ;   in Loop: Header=BB1_38 Depth=3
	v_mul_lo_u32 v24, v22, 24
	v_mov_b64_e32 v[26:27], v[12:13]
	v_mov_b32_e32 v33, 0
	s_mov_b32 s26, 0
	ds_load_2addr_b64 v[0:3], v24 offset0:128 offset1:129
	ds_load_b64 v[24:25], v24 offset:1040
.LBB1_40:                               ;   Parent Loop BB1_14 Depth=1
                                        ;     Parent Loop BB1_35 Depth=2
                                        ;       Parent Loop BB1_38 Depth=3
                                        ; =>      This Inner Loop Header: Depth=4
	v_add_nc_u32_e32 v50, v28, v33
	v_add_nc_u64_e32 v[26:27], v[26:27], v[8:9]
	ds_load_2addr_b64 v[34:37], v50 offset1:4
	v_cmp_lt_u64_e64 s5, 3, v[26:27]
	s_or_b32 s26, s5, s26
	s_wait_dscnt 0x0
	v_fma_f64 v[34:35], v[0:1], v[34:35], 0
	s_delay_alu instid0(VALU_DEP_1)
	v_fmac_f64_e32 v[34:35], v[2:3], v[36:37]
	ds_load_b64 v[36:37], v50 offset:64
	s_wait_dscnt 0x0
	v_fmac_f64_e32 v[34:35], v[24:25], v[36:37]
	v_dual_add_nc_u32 v36, v31, v33 :: v_dual_add_nc_u32 v33, v33, v32
	ds_store_b64 v36, v[34:35]
	s_and_not1_b32 exec_lo, exec_lo, s26
	s_cbranch_execnz .LBB1_40
	s_branch .LBB1_37
.LBB1_41:                               ;   in Loop: Header=BB1_14 Depth=1
	s_or_b32 exec_lo, exec_lo, s6
	s_wait_dscnt 0x0
	s_barrier_signal -1
	s_barrier_wait -1
	s_and_saveexec_b32 s6, s0
	s_cbranch_execz .LBB1_50
; %bb.42:                               ;   in Loop: Header=BB1_14 Depth=1
	s_load_b32 s5, s[16:17], 0x4
	s_mov_b32 s21, 0
	v_mov_b64_e32 v[22:23], v[16:17]
	v_mov_b64_e32 v[24:25], v[14:15]
	v_dual_mov_b32 v5, v9 :: v_dual_mov_b32 v7, v9
	s_wait_kmcnt 0x0
	s_cmp_lt_u32 s24, s5
	s_cselect_b32 s20, 14, 20
	s_delay_alu instid0(SALU_CYCLE_1) | instskip(SKIP_3) | instid1(VALU_DEP_1)
	s_add_nc_u64 s[22:23], s[16:17], s[20:21]
	global_load_u16 v0, v9, s[22:23]
	s_wait_loadcnt 0x0
	v_and_b32_e32 v4, 0xffff, v0
	v_dual_mov_b32 v50, v47 :: v_dual_lshlrev_b32 v6, 5, v4
	s_branch .LBB1_44
.LBB1_43:                               ;   in Loop: Header=BB1_44 Depth=2
	s_or_b32 exec_lo, exec_lo, s20
	v_add_nc_u64_e32 v[24:25], s[12:13], v[24:25]
	v_add_nc_u64_e32 v[22:23], s[8:9], v[22:23]
	v_add_nc_u32_e32 v50, s8, v50
	s_delay_alu instid0(VALU_DEP_3) | instskip(SKIP_1) | instid1(SALU_CYCLE_1)
	v_cmp_lt_u64_e64 s5, 3, v[24:25]
	s_or_b32 s21, s5, s21
	s_and_not1_b32 exec_lo, exec_lo, s21
	s_cbranch_execz .LBB1_50
.LBB1_44:                               ;   Parent Loop BB1_14 Depth=1
                                        ; =>  This Loop Header: Depth=2
                                        ;       Child Loop BB1_47 Depth 3
                                        ;         Child Loop BB1_49 Depth 4
	s_wait_xcnt 0x0
	s_and_saveexec_b32 s20, s4
	s_cbranch_execz .LBB1_43
; %bb.45:                               ;   in Loop: Header=BB1_44 Depth=2
	s_load_b32 s5, s[16:17], 0x0
	s_mov_b32 s23, 0
	v_mad_u32 v51, v24, 24, 0x400
	v_mov_b64_e32 v[28:29], v[22:23]
	v_mov_b64_e32 v[30:31], v[10:11]
	v_dual_mov_b32 v27, v9 :: v_dual_mov_b32 v52, v40
	s_wait_kmcnt 0x0
	s_cmp_lt_u32 s14, s5
	s_cselect_b32 s22, 12, 18
	s_delay_alu instid0(SALU_CYCLE_1) | instskip(SKIP_3) | instid1(VALU_DEP_1)
	s_add_nc_u64 s[26:27], s[16:17], s[22:23]
	global_load_u16 v0, v9, s[26:27]
	s_wait_loadcnt 0x0
	v_and_b32_e32 v8, 0xffff, v0
	v_dual_mov_b32 v53, v50 :: v_dual_lshlrev_b32 v26, 3, v8
	s_branch .LBB1_47
.LBB1_46:                               ;   in Loop: Header=BB1_47 Depth=3
	s_or_b32 exec_lo, exec_lo, s22
	v_add_nc_u64_e32 v[30:31], v[30:31], v[4:5]
	v_add_nc_u64_e32 v[28:29], v[28:29], v[6:7]
	v_dual_add_nc_u32 v53, v53, v6 :: v_dual_add_nc_u32 v52, v52, v6
	s_delay_alu instid0(VALU_DEP_3) | instskip(SKIP_1) | instid1(SALU_CYCLE_1)
	v_cmp_lt_u64_e64 s5, 3, v[30:31]
	s_or_b32 s23, s5, s23
	s_and_not1_b32 exec_lo, exec_lo, s23
	s_cbranch_execz .LBB1_43
.LBB1_47:                               ;   Parent Loop BB1_14 Depth=1
                                        ;     Parent Loop BB1_44 Depth=2
                                        ; =>    This Loop Header: Depth=3
                                        ;         Child Loop BB1_49 Depth 4
	s_wait_xcnt 0x0
	s_and_saveexec_b32 s22, s3
	s_cbranch_execz .LBB1_46
; %bb.48:                               ;   in Loop: Header=BB1_47 Depth=3
	ds_load_2addr_b64 v[0:3], v51 offset1:1
	ds_load_b64 v[32:33], v51 offset:16
	v_mov_b64_e32 v[34:35], v[28:29]
	v_mov_b64_e32 v[36:37], v[12:13]
	v_mov_b32_e32 v54, 0
	s_mov_b32 s26, 0
.LBB1_49:                               ;   Parent Loop BB1_14 Depth=1
                                        ;     Parent Loop BB1_44 Depth=2
                                        ;       Parent Loop BB1_47 Depth=3
                                        ; =>      This Inner Loop Header: Depth=4
	global_load_b64 v[60:61], v[34:35], off
	v_add_nc_u32_e32 v55, v52, v54
	v_add_nc_u64_e32 v[36:37], v[36:37], v[8:9]
	s_wait_xcnt 0x0
	v_add_nc_u64_e32 v[34:35], v[34:35], v[26:27]
	ds_load_2addr_b64 v[56:59], v55 offset1:16
	v_cmp_lt_u64_e64 s5, 3, v[36:37]
	s_or_b32 s26, s5, s26
	s_wait_dscnt 0x0
	v_fma_f64 v[56:57], v[0:1], v[56:57], 0
	s_delay_alu instid0(VALU_DEP_1)
	v_fmac_f64_e32 v[56:57], v[2:3], v[58:59]
	ds_load_b64 v[58:59], v55 offset:256
	v_add_nc_u32_e32 v55, v53, v54
	v_add_nc_u32_e32 v54, v54, v26
	s_wait_dscnt 0x0
	v_fmac_f64_e32 v[56:57], v[32:33], v[58:59]
	s_wait_loadcnt 0x0
	s_delay_alu instid0(VALU_DEP_1)
	v_mul_f64_e32 v[56:57], v[60:61], v[56:57]
	ds_store_b64 v55, v[56:57]
	s_and_not1_b32 exec_lo, exec_lo, s26
	s_cbranch_execnz .LBB1_49
	s_branch .LBB1_46
.LBB1_50:                               ;   in Loop: Header=BB1_14 Depth=1
	s_or_b32 exec_lo, exec_lo, s6
	s_wait_dscnt 0x0
	s_barrier_signal -1
	s_barrier_wait -1
	s_and_saveexec_b32 s6, s0
	s_cbranch_execz .LBB1_59
; %bb.51:                               ;   in Loop: Header=BB1_14 Depth=1
	s_load_b32 s5, s[16:17], 0x4
	s_mov_b32 s21, 0
	v_mov_b64_e32 v[24:25], v[14:15]
	v_dual_mov_b32 v23, v9 :: v_dual_mov_b32 v31, v46
	s_wait_kmcnt 0x0
	s_cmp_lt_u32 s24, s5
	s_cselect_b32 s20, 14, 20
	s_delay_alu instid0(SALU_CYCLE_1) | instskip(SKIP_3) | instid1(VALU_DEP_1)
	s_add_nc_u64 s[22:23], s[16:17], s[20:21]
	global_load_u16 v0, v9, s[22:23]
	s_wait_loadcnt 0x0
	v_and_b32_e32 v22, 0xffff, v0
	v_mul_lo_u32 v30, v22, 24
	s_branch .LBB1_53
.LBB1_52:                               ;   in Loop: Header=BB1_53 Depth=2
	s_or_b32 exec_lo, exec_lo, s20
	v_add_nc_u64_e32 v[24:25], s[12:13], v[24:25]
	v_add_nc_u32_e32 v31, s25, v31
	s_delay_alu instid0(VALU_DEP_2) | instskip(SKIP_1) | instid1(SALU_CYCLE_1)
	v_cmp_lt_u64_e64 s5, 3, v[24:25]
	s_or_b32 s21, s5, s21
	s_and_not1_b32 exec_lo, exec_lo, s21
	s_cbranch_execz .LBB1_59
.LBB1_53:                               ;   Parent Loop BB1_14 Depth=1
                                        ; =>  This Loop Header: Depth=2
                                        ;       Child Loop BB1_56 Depth 3
                                        ;         Child Loop BB1_58 Depth 4
	s_wait_xcnt 0x0
	s_and_saveexec_b32 s20, s4
	s_cbranch_execz .LBB1_52
; %bb.54:                               ;   in Loop: Header=BB1_53 Depth=2
	s_load_b32 s5, s[16:17], 0x0
	s_mov_b32 s23, 0
	v_mov_b64_e32 v[26:27], v[10:11]
	v_lshl_add_u32 v32, v24, 7, 0x200
	s_wait_kmcnt 0x0
	s_cmp_lt_u32 s14, s5
	s_cselect_b32 s22, 12, 18
	s_delay_alu instid0(SALU_CYCLE_1) | instskip(SKIP_3) | instid1(VALU_DEP_1)
	s_add_nc_u64 s[26:27], s[16:17], s[22:23]
	global_load_u16 v0, v9, s[26:27]
	s_wait_loadcnt 0x0
	v_and_b32_e32 v8, 0xffff, v0
	v_dual_mov_b32 v33, v31 :: v_dual_lshlrev_b32 v34, 3, v8
	v_lshlrev_b32_e32 v35, 5, v8
	s_branch .LBB1_56
.LBB1_55:                               ;   in Loop: Header=BB1_56 Depth=3
	s_or_b32 exec_lo, exec_lo, s22
	v_add_nc_u64_e32 v[26:27], v[26:27], v[22:23]
	v_add_nc_u32_e32 v33, v33, v30
	s_delay_alu instid0(VALU_DEP_2) | instskip(SKIP_1) | instid1(SALU_CYCLE_1)
	v_cmp_lt_u64_e64 s5, 3, v[26:27]
	s_or_b32 s23, s5, s23
	s_and_not1_b32 exec_lo, exec_lo, s23
	s_cbranch_execz .LBB1_52
.LBB1_56:                               ;   Parent Loop BB1_14 Depth=1
                                        ;     Parent Loop BB1_53 Depth=2
                                        ; =>    This Loop Header: Depth=3
                                        ;         Child Loop BB1_58 Depth 4
	s_wait_xcnt 0x0
	s_and_saveexec_b32 s22, s2
	s_cbranch_execz .LBB1_55
; %bb.57:                               ;   in Loop: Header=BB1_56 Depth=3
	v_lshl_add_u32 v4, v26, 5, v32
	v_mov_b64_e32 v[28:29], v[12:13]
	v_dual_mov_b32 v36, v43 :: v_dual_mov_b32 v37, v33
	s_mov_b32 s26, 0
	ds_load_b128 v[0:3], v4
	ds_load_b128 v[4:7], v4 offset:16
.LBB1_58:                               ;   Parent Loop BB1_14 Depth=1
                                        ;     Parent Loop BB1_53 Depth=2
                                        ;       Parent Loop BB1_56 Depth=3
                                        ; =>      This Inner Loop Header: Depth=4
	ds_load_b128 v[50:53], v36
	ds_load_b128 v[54:57], v36 offset:16
	v_add_nc_u64_e32 v[28:29], v[28:29], v[8:9]
	v_add_nc_u32_e32 v36, v36, v35
	s_delay_alu instid0(VALU_DEP_2) | instskip(SKIP_3) | instid1(VALU_DEP_1)
	v_cmp_lt_u64_e64 s5, 2, v[28:29]
	s_or_b32 s26, s5, s26
	s_wait_dscnt 0x1
	v_fma_f64 v[50:51], v[0:1], v[50:51], 0
	v_fmac_f64_e32 v[50:51], v[2:3], v[52:53]
	s_wait_dscnt 0x0
	s_delay_alu instid0(VALU_DEP_1) | instskip(NEXT) | instid1(VALU_DEP_1)
	v_fmac_f64_e32 v[50:51], v[4:5], v[54:55]
	v_fmac_f64_e32 v[50:51], v[6:7], v[56:57]
	ds_store_b64 v37, v[50:51]
	v_add_nc_u32_e32 v37, v37, v34
	s_and_not1_b32 exec_lo, exec_lo, s26
	s_cbranch_execnz .LBB1_58
	s_branch .LBB1_55
.LBB1_59:                               ;   in Loop: Header=BB1_14 Depth=1
	s_or_b32 exec_lo, exec_lo, s6
	s_wait_dscnt 0x0
	s_barrier_signal -1
	s_barrier_wait -1
	s_and_saveexec_b32 s6, s0
	s_cbranch_execz .LBB1_68
; %bb.60:                               ;   in Loop: Header=BB1_14 Depth=1
	s_load_b32 s5, s[16:17], 0x4
	s_mov_b32 s21, 0
	v_mov_b64_e32 v[24:25], v[14:15]
	v_dual_mov_b32 v23, v9 :: v_dual_mov_b32 v31, v39
	v_mov_b32_e32 v32, v48
	s_wait_kmcnt 0x0
	s_cmp_lt_u32 s24, s5
	s_cselect_b32 s20, 14, 20
	s_delay_alu instid0(SALU_CYCLE_1) | instskip(SKIP_3) | instid1(VALU_DEP_1)
	s_add_nc_u64 s[22:23], s[16:17], s[20:21]
	global_load_u16 v0, v9, s[22:23]
	s_wait_loadcnt 0x0
	v_and_b32_e32 v22, 0xffff, v0
	v_mul_lo_u32 v30, v22, 24
	s_branch .LBB1_62
.LBB1_61:                               ;   in Loop: Header=BB1_62 Depth=2
	s_or_b32 exec_lo, exec_lo, s20
	v_add_nc_u64_e32 v[24:25], s[12:13], v[24:25]
	v_dual_add_nc_u32 v32, s15, v32 :: v_dual_add_nc_u32 v31, s25, v31
	s_delay_alu instid0(VALU_DEP_2) | instskip(SKIP_1) | instid1(SALU_CYCLE_1)
	v_cmp_lt_u64_e64 s5, 3, v[24:25]
	s_or_b32 s21, s5, s21
	s_and_not1_b32 exec_lo, exec_lo, s21
	s_cbranch_execz .LBB1_68
.LBB1_62:                               ;   Parent Loop BB1_14 Depth=1
                                        ; =>  This Loop Header: Depth=2
                                        ;       Child Loop BB1_65 Depth 3
                                        ;         Child Loop BB1_67 Depth 4
	s_wait_xcnt 0x0
	s_and_saveexec_b32 s20, s1
	s_cbranch_execz .LBB1_61
; %bb.63:                               ;   in Loop: Header=BB1_62 Depth=2
	s_load_b32 s5, s[16:17], 0x0
	s_mov_b32 s23, 0
	v_mov_b64_e32 v[26:27], v[10:11]
	s_wait_kmcnt 0x0
	s_cmp_lt_u32 s14, s5
	s_cselect_b32 s22, 12, 18
	s_delay_alu instid0(SALU_CYCLE_1) | instskip(SKIP_3) | instid1(VALU_DEP_1)
	s_add_nc_u64 s[26:27], s[16:17], s[22:23]
	global_load_u16 v0, v9, s[26:27]
	s_wait_loadcnt 0x0
	v_and_b32_e32 v8, 0xffff, v0
	v_dual_mov_b32 v33, v32 :: v_dual_lshlrev_b32 v34, 3, v8
	s_branch .LBB1_65
.LBB1_64:                               ;   in Loop: Header=BB1_65 Depth=3
	s_or_b32 exec_lo, exec_lo, s22
	v_add_nc_u64_e32 v[26:27], v[26:27], v[22:23]
	v_add_nc_u32_e32 v33, v33, v30
	s_delay_alu instid0(VALU_DEP_2) | instskip(SKIP_1) | instid1(SALU_CYCLE_1)
	v_cmp_lt_u64_e64 s5, 2, v[26:27]
	s_or_b32 s23, s5, s23
	s_and_not1_b32 exec_lo, exec_lo, s23
	s_cbranch_execz .LBB1_61
.LBB1_65:                               ;   Parent Loop BB1_14 Depth=1
                                        ;     Parent Loop BB1_62 Depth=2
                                        ; =>    This Loop Header: Depth=3
                                        ;         Child Loop BB1_67 Depth 4
	s_wait_xcnt 0x0
	s_and_saveexec_b32 s22, s2
	s_cbranch_execz .LBB1_64
; %bb.66:                               ;   in Loop: Header=BB1_65 Depth=3
	v_dual_mov_b32 v35, 0 :: v_dual_lshlrev_b32 v4, 5, v26
	v_mov_b64_e32 v[28:29], v[12:13]
	s_mov_b32 s26, 0
	ds_load_b128 v[0:3], v4 offset:1120
	ds_load_b128 v[4:7], v4 offset:1136
.LBB1_67:                               ;   Parent Loop BB1_14 Depth=1
                                        ;     Parent Loop BB1_62 Depth=2
                                        ;       Parent Loop BB1_65 Depth=3
                                        ; =>      This Inner Loop Header: Depth=4
	v_add_nc_u32_e32 v54, v31, v35
	v_add_nc_u64_e32 v[28:29], v[28:29], v[8:9]
	ds_load_2addr_b64 v[50:53], v54 offset1:3
	v_cmp_lt_u64_e64 s5, 2, v[28:29]
	s_or_b32 s26, s5, s26
	s_wait_dscnt 0x0
	v_fma_f64 v[36:37], v[0:1], v[50:51], 0
	s_delay_alu instid0(VALU_DEP_1) | instskip(SKIP_4) | instid1(VALU_DEP_2)
	v_fmac_f64_e32 v[36:37], v[2:3], v[52:53]
	ds_load_2addr_b64 v[50:53], v54 offset0:6 offset1:9
	s_wait_dscnt 0x0
	v_fmac_f64_e32 v[36:37], v[4:5], v[50:51]
	v_dual_add_nc_u32 v50, v33, v35 :: v_dual_add_nc_u32 v35, v35, v34
	v_fmac_f64_e32 v[36:37], v[6:7], v[52:53]
	ds_store_b64 v50, v[36:37]
	s_and_not1_b32 exec_lo, exec_lo, s26
	s_cbranch_execnz .LBB1_67
	s_branch .LBB1_64
.LBB1_68:                               ;   in Loop: Header=BB1_14 Depth=1
	s_or_b32 exec_lo, exec_lo, s6
	s_wait_dscnt 0x0
	s_barrier_signal -1
	s_barrier_wait -1
	s_and_saveexec_b32 s26, vcc_lo
	s_cbranch_execz .LBB1_13
; %bb.69:                               ;   in Loop: Header=BB1_14 Depth=1
	s_load_b32 s5, s[16:17], 0x4
	s_mov_b32 s21, 0
	v_mov_b64_e32 v[24:25], v[20:21]
	v_mov_b64_e32 v[26:27], v[14:15]
	s_wait_kmcnt 0x0
	s_cmp_lt_u32 s24, s5
	s_cselect_b32 s20, 14, 20
	s_delay_alu instid0(SALU_CYCLE_1) | instskip(SKIP_3) | instid1(VALU_DEP_1)
	s_add_nc_u64 s[22:23], s[16:17], s[20:21]
	global_load_u16 v0, v9, s[22:23]
	s_wait_loadcnt 0x0
	v_and_b32_e32 v8, 0xffff, v0
	v_mul_u64_e32 v[22:23], 24, v[8:9]
	v_mul_lo_u32 v36, v8, 24
	s_branch .LBB1_71
.LBB1_70:                               ;   in Loop: Header=BB1_71 Depth=2
	s_or_b32 exec_lo, exec_lo, s20
	v_add_nc_u64_e32 v[26:27], s[12:13], v[26:27]
	v_add_nc_u64_e32 v[24:25], s[18:19], v[24:25]
	s_delay_alu instid0(VALU_DEP_2) | instskip(SKIP_1) | instid1(SALU_CYCLE_1)
	v_cmp_lt_u64_e64 s5, 2, v[26:27]
	s_or_b32 s21, s5, s21
	s_and_not1_b32 exec_lo, exec_lo, s21
	s_cbranch_execz .LBB1_13
.LBB1_71:                               ;   Parent Loop BB1_14 Depth=1
                                        ; =>  This Loop Header: Depth=2
                                        ;       Child Loop BB1_74 Depth 3
                                        ;         Child Loop BB1_76 Depth 4
	s_wait_xcnt 0x0
	s_and_saveexec_b32 s20, s1
	s_cbranch_execz .LBB1_70
; %bb.72:                               ;   in Loop: Header=BB1_71 Depth=2
	s_load_b32 s5, s[16:17], 0xc
	v_mov_b64_e32 v[28:29], v[24:25]
	v_mov_b64_e32 v[30:31], v[10:11]
	v_lshl_add_u32 v37, v26, 5, 0x460
	v_mov_b32_e32 v50, v49
	s_mov_b32 s23, s7
	s_mov_b32 s27, 0
	s_wait_kmcnt 0x0
	s_and_b32 s6, s5, 0xffff
	s_delay_alu instid0(SALU_CYCLE_1)
	s_lshl_b32 s22, s6, 3
	s_branch .LBB1_74
.LBB1_73:                               ;   in Loop: Header=BB1_74 Depth=3
	s_or_b32 exec_lo, exec_lo, s28
	v_add_nc_u64_e32 v[30:31], v[30:31], v[8:9]
	v_add_nc_u64_e32 v[28:29], v[28:29], v[22:23]
	v_add_nc_u32_e32 v50, v50, v36
	s_delay_alu instid0(VALU_DEP_3) | instskip(SKIP_1) | instid1(SALU_CYCLE_1)
	v_cmp_lt_u64_e64 s5, 2, v[30:31]
	s_or_b32 s27, s5, s27
	s_and_not1_b32 exec_lo, exec_lo, s27
	s_cbranch_execz .LBB1_70
.LBB1_74:                               ;   Parent Loop BB1_14 Depth=1
                                        ;     Parent Loop BB1_71 Depth=2
                                        ; =>    This Loop Header: Depth=3
                                        ;         Child Loop BB1_76 Depth 4
	s_and_saveexec_b32 s28, s2
	s_cbranch_execz .LBB1_73
; %bb.75:                               ;   in Loop: Header=BB1_74 Depth=3
	ds_load_b128 v[0:3], v37
	ds_load_b128 v[4:7], v37 offset:16
	v_mov_b64_e32 v[32:33], v[28:29]
	v_mov_b64_e32 v[34:35], v[12:13]
	v_mov_b32_e32 v51, v50
	s_mov_b32 s29, 0
.LBB1_76:                               ;   Parent Loop BB1_14 Depth=1
                                        ;     Parent Loop BB1_71 Depth=2
                                        ;       Parent Loop BB1_74 Depth=3
                                        ; =>      This Inner Loop Header: Depth=4
	ds_load_2addr_b64 v[52:55], v51 offset1:9
	v_add_nc_u64_e32 v[34:35], s[6:7], v[34:35]
	s_delay_alu instid0(VALU_DEP_1) | instskip(SKIP_3) | instid1(VALU_DEP_1)
	v_cmp_lt_u64_e64 s5, 2, v[34:35]
	s_or_b32 s29, s5, s29
	s_wait_dscnt 0x0
	v_fma_f64 v[56:57], v[52:53], v[0:1], 0
	v_fmac_f64_e32 v[56:57], v[54:55], v[2:3]
	ds_load_2addr_b64 v[52:55], v51 offset0:18 offset1:27
	v_add_nc_u32_e32 v51, s22, v51
	s_wait_dscnt 0x0
	v_fmac_f64_e32 v[56:57], v[52:53], v[4:5]
	s_delay_alu instid0(VALU_DEP_1)
	v_fmac_f64_e32 v[56:57], v[54:55], v[6:7]
	global_store_b64 v[32:33], v[56:57], off
	s_wait_xcnt 0x0
	v_add_nc_u64_e32 v[32:33], s[22:23], v[32:33]
	s_and_not1_b32 exec_lo, exec_lo, s29
	s_cbranch_execnz .LBB1_76
	s_branch .LBB1_73
.LBB1_77:
	s_endpgm
	.section	.rodata,"a",@progbits
	.p2align	6, 0x0
	.amdhsa_kernel _ZN4RAJA34launch_new_reduce_global_fcn_fixedIZN8rajaperf4apps11MASSVEC3DPA17runHipVariantImplILm64ELm0EEEvNS1_9VariantIDEEUlNS_14LaunchContextTINS_3hip33LaunchContextIndicesAndDimsPolicyINS7_14IndicesAndDimsILb0ELb0ELb0ELb0EEEEEEEE_Li64ENS_4expt15ForallParamPackIJEEEEEvT_T1_
		.amdhsa_group_segment_fixed_size 1216
		.amdhsa_private_segment_fixed_size 0
		.amdhsa_kernarg_size 304
		.amdhsa_user_sgpr_count 2
		.amdhsa_user_sgpr_dispatch_ptr 0
		.amdhsa_user_sgpr_queue_ptr 0
		.amdhsa_user_sgpr_kernarg_segment_ptr 1
		.amdhsa_user_sgpr_dispatch_id 0
		.amdhsa_user_sgpr_kernarg_preload_length 0
		.amdhsa_user_sgpr_kernarg_preload_offset 0
		.amdhsa_user_sgpr_private_segment_size 0
		.amdhsa_wavefront_size32 1
		.amdhsa_uses_dynamic_stack 0
		.amdhsa_enable_private_segment 0
		.amdhsa_system_sgpr_workgroup_id_x 1
		.amdhsa_system_sgpr_workgroup_id_y 1
		.amdhsa_system_sgpr_workgroup_id_z 0
		.amdhsa_system_sgpr_workgroup_info 0
		.amdhsa_system_vgpr_workitem_id 2
		.amdhsa_next_free_vgpr 62
		.amdhsa_next_free_sgpr 30
		.amdhsa_named_barrier_count 0
		.amdhsa_reserve_vcc 1
		.amdhsa_float_round_mode_32 0
		.amdhsa_float_round_mode_16_64 0
		.amdhsa_float_denorm_mode_32 3
		.amdhsa_float_denorm_mode_16_64 3
		.amdhsa_fp16_overflow 0
		.amdhsa_memory_ordered 1
		.amdhsa_forward_progress 1
		.amdhsa_inst_pref_size 31
		.amdhsa_round_robin_scheduling 0
		.amdhsa_exception_fp_ieee_invalid_op 0
		.amdhsa_exception_fp_denorm_src 0
		.amdhsa_exception_fp_ieee_div_zero 0
		.amdhsa_exception_fp_ieee_overflow 0
		.amdhsa_exception_fp_ieee_underflow 0
		.amdhsa_exception_fp_ieee_inexact 0
		.amdhsa_exception_int_div_zero 0
	.end_amdhsa_kernel
	.section	.text._ZN4RAJA34launch_new_reduce_global_fcn_fixedIZN8rajaperf4apps11MASSVEC3DPA17runHipVariantImplILm64ELm0EEEvNS1_9VariantIDEEUlNS_14LaunchContextTINS_3hip33LaunchContextIndicesAndDimsPolicyINS7_14IndicesAndDimsILb0ELb0ELb0ELb0EEEEEEEE_Li64ENS_4expt15ForallParamPackIJEEEEEvT_T1_,"axG",@progbits,_ZN4RAJA34launch_new_reduce_global_fcn_fixedIZN8rajaperf4apps11MASSVEC3DPA17runHipVariantImplILm64ELm0EEEvNS1_9VariantIDEEUlNS_14LaunchContextTINS_3hip33LaunchContextIndicesAndDimsPolicyINS7_14IndicesAndDimsILb0ELb0ELb0ELb0EEEEEEEE_Li64ENS_4expt15ForallParamPackIJEEEEEvT_T1_,comdat
.Lfunc_end1:
	.size	_ZN4RAJA34launch_new_reduce_global_fcn_fixedIZN8rajaperf4apps11MASSVEC3DPA17runHipVariantImplILm64ELm0EEEvNS1_9VariantIDEEUlNS_14LaunchContextTINS_3hip33LaunchContextIndicesAndDimsPolicyINS7_14IndicesAndDimsILb0ELb0ELb0ELb0EEEEEEEE_Li64ENS_4expt15ForallParamPackIJEEEEEvT_T1_, .Lfunc_end1-_ZN4RAJA34launch_new_reduce_global_fcn_fixedIZN8rajaperf4apps11MASSVEC3DPA17runHipVariantImplILm64ELm0EEEvNS1_9VariantIDEEUlNS_14LaunchContextTINS_3hip33LaunchContextIndicesAndDimsPolicyINS7_14IndicesAndDimsILb0ELb0ELb0ELb0EEEEEEEE_Li64ENS_4expt15ForallParamPackIJEEEEEvT_T1_
                                        ; -- End function
	.set _ZN4RAJA34launch_new_reduce_global_fcn_fixedIZN8rajaperf4apps11MASSVEC3DPA17runHipVariantImplILm64ELm0EEEvNS1_9VariantIDEEUlNS_14LaunchContextTINS_3hip33LaunchContextIndicesAndDimsPolicyINS7_14IndicesAndDimsILb0ELb0ELb0ELb0EEEEEEEE_Li64ENS_4expt15ForallParamPackIJEEEEEvT_T1_.num_vgpr, 62
	.set _ZN4RAJA34launch_new_reduce_global_fcn_fixedIZN8rajaperf4apps11MASSVEC3DPA17runHipVariantImplILm64ELm0EEEvNS1_9VariantIDEEUlNS_14LaunchContextTINS_3hip33LaunchContextIndicesAndDimsPolicyINS7_14IndicesAndDimsILb0ELb0ELb0ELb0EEEEEEEE_Li64ENS_4expt15ForallParamPackIJEEEEEvT_T1_.num_agpr, 0
	.set _ZN4RAJA34launch_new_reduce_global_fcn_fixedIZN8rajaperf4apps11MASSVEC3DPA17runHipVariantImplILm64ELm0EEEvNS1_9VariantIDEEUlNS_14LaunchContextTINS_3hip33LaunchContextIndicesAndDimsPolicyINS7_14IndicesAndDimsILb0ELb0ELb0ELb0EEEEEEEE_Li64ENS_4expt15ForallParamPackIJEEEEEvT_T1_.numbered_sgpr, 30
	.set _ZN4RAJA34launch_new_reduce_global_fcn_fixedIZN8rajaperf4apps11MASSVEC3DPA17runHipVariantImplILm64ELm0EEEvNS1_9VariantIDEEUlNS_14LaunchContextTINS_3hip33LaunchContextIndicesAndDimsPolicyINS7_14IndicesAndDimsILb0ELb0ELb0ELb0EEEEEEEE_Li64ENS_4expt15ForallParamPackIJEEEEEvT_T1_.num_named_barrier, 0
	.set _ZN4RAJA34launch_new_reduce_global_fcn_fixedIZN8rajaperf4apps11MASSVEC3DPA17runHipVariantImplILm64ELm0EEEvNS1_9VariantIDEEUlNS_14LaunchContextTINS_3hip33LaunchContextIndicesAndDimsPolicyINS7_14IndicesAndDimsILb0ELb0ELb0ELb0EEEEEEEE_Li64ENS_4expt15ForallParamPackIJEEEEEvT_T1_.private_seg_size, 0
	.set _ZN4RAJA34launch_new_reduce_global_fcn_fixedIZN8rajaperf4apps11MASSVEC3DPA17runHipVariantImplILm64ELm0EEEvNS1_9VariantIDEEUlNS_14LaunchContextTINS_3hip33LaunchContextIndicesAndDimsPolicyINS7_14IndicesAndDimsILb0ELb0ELb0ELb0EEEEEEEE_Li64ENS_4expt15ForallParamPackIJEEEEEvT_T1_.uses_vcc, 1
	.set _ZN4RAJA34launch_new_reduce_global_fcn_fixedIZN8rajaperf4apps11MASSVEC3DPA17runHipVariantImplILm64ELm0EEEvNS1_9VariantIDEEUlNS_14LaunchContextTINS_3hip33LaunchContextIndicesAndDimsPolicyINS7_14IndicesAndDimsILb0ELb0ELb0ELb0EEEEEEEE_Li64ENS_4expt15ForallParamPackIJEEEEEvT_T1_.uses_flat_scratch, 0
	.set _ZN4RAJA34launch_new_reduce_global_fcn_fixedIZN8rajaperf4apps11MASSVEC3DPA17runHipVariantImplILm64ELm0EEEvNS1_9VariantIDEEUlNS_14LaunchContextTINS_3hip33LaunchContextIndicesAndDimsPolicyINS7_14IndicesAndDimsILb0ELb0ELb0ELb0EEEEEEEE_Li64ENS_4expt15ForallParamPackIJEEEEEvT_T1_.has_dyn_sized_stack, 0
	.set _ZN4RAJA34launch_new_reduce_global_fcn_fixedIZN8rajaperf4apps11MASSVEC3DPA17runHipVariantImplILm64ELm0EEEvNS1_9VariantIDEEUlNS_14LaunchContextTINS_3hip33LaunchContextIndicesAndDimsPolicyINS7_14IndicesAndDimsILb0ELb0ELb0ELb0EEEEEEEE_Li64ENS_4expt15ForallParamPackIJEEEEEvT_T1_.has_recursion, 0
	.set _ZN4RAJA34launch_new_reduce_global_fcn_fixedIZN8rajaperf4apps11MASSVEC3DPA17runHipVariantImplILm64ELm0EEEvNS1_9VariantIDEEUlNS_14LaunchContextTINS_3hip33LaunchContextIndicesAndDimsPolicyINS7_14IndicesAndDimsILb0ELb0ELb0ELb0EEEEEEEE_Li64ENS_4expt15ForallParamPackIJEEEEEvT_T1_.has_indirect_call, 0
	.section	.AMDGPU.csdata,"",@progbits
; Kernel info:
; codeLenInByte = 3952
; TotalNumSgprs: 32
; NumVgprs: 62
; ScratchSize: 0
; MemoryBound: 0
; FloatMode: 240
; IeeeMode: 1
; LDSByteSize: 1216 bytes/workgroup (compile time only)
; SGPRBlocks: 0
; VGPRBlocks: 3
; NumSGPRsForWavesPerEU: 32
; NumVGPRsForWavesPerEU: 62
; NamedBarCnt: 0
; Occupancy: 16
; WaveLimiterHint : 0
; COMPUTE_PGM_RSRC2:SCRATCH_EN: 0
; COMPUTE_PGM_RSRC2:USER_SGPR: 2
; COMPUTE_PGM_RSRC2:TRAP_HANDLER: 0
; COMPUTE_PGM_RSRC2:TGID_X_EN: 1
; COMPUTE_PGM_RSRC2:TGID_Y_EN: 1
; COMPUTE_PGM_RSRC2:TGID_Z_EN: 0
; COMPUTE_PGM_RSRC2:TIDIG_COMP_CNT: 2
	.section	.text._ZN8rajaperf4apps17MassVec3DPADirectILm64EEEvPdS2_S2_S2_,"axG",@progbits,_ZN8rajaperf4apps17MassVec3DPADirectILm64EEEvPdS2_S2_S2_,comdat
	.protected	_ZN8rajaperf4apps17MassVec3DPADirectILm64EEEvPdS2_S2_S2_ ; -- Begin function _ZN8rajaperf4apps17MassVec3DPADirectILm64EEEvPdS2_S2_S2_
	.globl	_ZN8rajaperf4apps17MassVec3DPADirectILm64EEEvPdS2_S2_S2_
	.p2align	8
	.type	_ZN8rajaperf4apps17MassVec3DPADirectILm64EEEvPdS2_S2_S2_,@function
_ZN8rajaperf4apps17MassVec3DPADirectILm64EEEvPdS2_S2_S2_: ; @_ZN8rajaperf4apps17MassVec3DPADirectILm64EEEvPdS2_S2_S2_
; %bb.0:
	v_bfe_u32 v26, v0, 20, 10
	v_bfe_u32 v23, v0, 10, 10
	v_and_b32_e32 v4, 0x3ff, v0
	s_delay_alu instid0(VALU_DEP_3) | instskip(NEXT) | instid1(VALU_DEP_3)
	v_cmp_ne_u32_e32 vcc_lo, 0, v26
	v_cmp_lt_u32_e64 s2, 2, v23
	s_or_b32 s2, vcc_lo, s2
	s_delay_alu instid0(SALU_CYCLE_1) | instskip(NEXT) | instid1(SALU_CYCLE_1)
	s_and_saveexec_b32 s3, s2
	s_xor_b32 s2, exec_lo, s3
; %bb.1:
	v_and_b32_e32 v4, 0x3ff, v0
; %bb.2:
	s_or_saveexec_b32 s2, s2
	s_load_b256 s[4:11], s[0:1], 0x0
	s_xor_b32 exec_lo, exec_lo, s2
	s_cbranch_execz .LBB2_6
; %bb.3:
	s_wait_xcnt 0x0
	s_mov_b32 s0, exec_lo
	v_cmpx_gt_u32_e32 4, v4
	s_cbranch_execz .LBB2_5
; %bb.4:
	v_dual_mov_b32 v1, 0 :: v_dual_lshlrev_b32 v0, 5, v23
	s_delay_alu instid0(VALU_DEP_1) | instskip(SKIP_1) | instid1(VALU_DEP_2)
	v_dual_mov_b32 v7, v1 :: v_dual_lshlrev_b32 v6, 3, v4
	s_wait_kmcnt 0x0
	v_add_nc_u64_e32 v[2:3], s[4:5], v[0:1]
	s_delay_alu instid0(VALU_DEP_2) | instskip(NEXT) | instid1(VALU_DEP_1)
	v_dual_lshlrev_b32 v1, 3, v23 :: v_dual_add_nc_u32 v0, v0, v6
	v_mad_u32_u24 v1, v4, 24, v1
	s_delay_alu instid0(VALU_DEP_3)
	v_add_nc_u64_e32 v[2:3], v[2:3], v[6:7]
	global_load_b64 v[2:3], v[2:3], off
	s_wait_loadcnt 0x0
	ds_store_b64 v1, v[2:3] offset:1024
	ds_store_b64 v0, v[2:3] offset:1120
.LBB2_5:
	s_or_b32 exec_lo, exec_lo, s0
.LBB2_6:
	s_delay_alu instid0(SALU_CYCLE_1)
	s_or_b32 exec_lo, exec_lo, s2
	v_mov_b32_e32 v5, 0
	v_mul_u32_u24_e32 v6, 24, v23
	s_wait_xcnt 0x0
	s_bfe_u32 s0, ttmp6, 0x4000c
	s_and_b32 s1, ttmp6, 15
	s_add_co_i32 s0, s0, 1
	v_mov_b32_e32 v7, v5
	s_mul_i32 s0, ttmp9, s0
	s_getreg_b32 s2, hwreg(HW_REG_IB_STS2, 6, 4)
	s_add_co_i32 s1, s1, s0
	s_cmp_eq_u32 s2, 0
	s_wait_kmcnt 0x0
	v_add_nc_u64_e32 v[0:1], s[8:9], v[6:7]
	s_mov_b32 s9, 0
	s_cselect_b32 s8, ttmp9, s1
	v_mad_u32_u24 v10, 0x48, v26, v6
	v_cmp_lt_u32_e32 vcc_lo, 2, v26
	v_cmp_lt_u32_e64 s0, 2, v23
	s_mul_u64 s[4:5], s[8:9], 0x288
	v_lshl_add_u64 v[0:1], v[4:5], 3, v[0:1]
	v_cmp_lt_u32_e64 s1, 2, v4
	v_lshl_add_u32 v13, v4, 3, v10
	s_or_b32 s3, vcc_lo, s0
	v_mad_co_u64_u32 v[0:1], null, 0x48, v26, v[0:1]
	s_nor_b32 s12, s3, s1
	v_add_nc_u64_e32 v[0:1], s[4:5], v[0:1]
	s_and_saveexec_b32 s2, s12
	s_cbranch_execz .LBB2_8
; %bb.7:
	global_load_b64 v[2:3], v[0:1], off
	s_wait_loadcnt 0x0
	ds_store_b64 v13, v[2:3]
.LBB2_8:
	s_or_b32 exec_lo, exec_lo, s2
	s_movk_i32 s2, 0x60
	v_mad_u32 v11, v4, 24, 0x400
	v_mad_u32_u24 v15, v26, s2, 0x200
	v_dual_lshlrev_b32 v2, 5, v23 :: v_dual_lshlrev_b32 v27, 3, v4
	v_cmp_lt_u32_e64 s2, 3, v4
	v_mul_u32_u24_e32 v8, 0x48, v26
	s_wait_dscnt 0x0
	s_barrier_signal -1
	v_add3_u32 v12, v15, v2, v27
	s_nor_b32 s13, s3, s2
	s_barrier_wait -1
	s_and_saveexec_b32 s3, s13
	s_cbranch_execz .LBB2_10
; %bb.9:
	ds_load_2addr_b64 v[16:19], v11 offset1:1
	ds_load_2addr_b64 v[28:31], v10 offset1:1
	ds_load_b64 v[20:21], v10 offset:16
	ds_load_b64 v[24:25], v11 offset:16
	s_wait_dscnt 0x2
	v_fma_f64 v[16:17], v[28:29], v[16:17], 0
	s_delay_alu instid0(VALU_DEP_1) | instskip(SKIP_1) | instid1(VALU_DEP_1)
	v_fmac_f64_e32 v[16:17], v[30:31], v[18:19]
	s_wait_dscnt 0x0
	v_fmac_f64_e32 v[16:17], v[20:21], v[24:25]
	ds_store_b64 v12, v[16:17]
.LBB2_10:
	s_or_b32 exec_lo, exec_lo, s3
	v_mad_u32 v14, v23, 24, 0x400
	v_mad_u32_u24 v9, v26, 56, v8
	v_cmp_lt_u32_e64 s3, 3, v23
	v_add_nc_u32_e32 v17, v15, v27
	s_wait_dscnt 0x0
	s_barrier_signal -1
	v_add3_u32 v16, v9, v2, v27
	s_or_b32 s3, vcc_lo, s3
	s_barrier_wait -1
	s_nor_b32 s3, s3, s2
	s_delay_alu instid0(SALU_CYCLE_1)
	s_and_saveexec_b32 s2, s3
	s_cbranch_execz .LBB2_12
; %bb.11:
	ds_load_2addr_b64 v[18:21], v17 offset1:4
	ds_load_2addr_b64 v[28:31], v14 offset1:1
	ds_load_b64 v[24:25], v17 offset:64
	s_wait_dscnt 0x1
	v_fma_f64 v[18:19], v[18:19], v[28:29], 0
	s_delay_alu instid0(VALU_DEP_1)
	v_fmac_f64_e32 v[18:19], v[20:21], v[30:31]
	ds_load_b64 v[20:21], v14 offset:16
	s_wait_dscnt 0x0
	v_fmac_f64_e32 v[18:19], v[24:25], v[20:21]
	ds_store_b64 v16, v[18:19]
.LBB2_12:
	s_or_b32 exec_lo, exec_lo, s2
	v_dual_mov_b32 v3, 0 :: v_dual_lshlrev_b32 v24, 7, v26
	s_wait_dscnt 0x0
	s_barrier_signal -1
	s_barrier_wait -1
	s_delay_alu instid0(VALU_DEP_1) | instskip(SKIP_3) | instid1(VALU_DEP_2)
	v_add_nc_u64_e32 v[18:19], s[6:7], v[2:3]
	v_dual_mov_b32 v25, v3 :: v_dual_lshlrev_b32 v21, 5, v26
	s_lshl_b64 s[6:7], s[8:9], 9
	v_or_b32_e32 v22, v26, v23
	v_add_nc_u64_e32 v[18:19], v[18:19], v[24:25]
	s_delay_alu instid0(VALU_DEP_2) | instskip(NEXT) | instid1(VALU_DEP_1)
	v_dual_add_nc_u32 v24, v15, v21 :: v_dual_bitop2_b32 v25, v22, v4 bitop3:0x54
	v_add_nc_u32_e32 v15, v24, v2
	s_delay_alu instid0(VALU_DEP_3)
	v_add_nc_u64_e32 v[28:29], s[6:7], v[18:19]
	v_add_nc_u32_e32 v20, v2, v27
	v_mad_u32_u24 v19, v26, 24, 0x400
	v_cmp_gt_u32_e32 vcc_lo, 4, v25
	v_add_nc_u32_e32 v18, v15, v27
	v_lshl_add_u64 v[2:3], v[4:5], 3, v[28:29]
	s_and_saveexec_b32 s2, vcc_lo
	s_cbranch_execz .LBB2_14
; %bb.13:
	global_load_b64 v[36:37], v[2:3], off
	ds_load_2addr_b64 v[28:31], v20 offset1:16
	ds_load_2addr_b64 v[32:35], v19 offset1:1
	ds_load_b64 v[38:39], v20 offset:256
	s_wait_dscnt 0x1
	v_fma_f64 v[28:29], v[28:29], v[32:33], 0
	s_delay_alu instid0(VALU_DEP_1) | instskip(SKIP_4) | instid1(VALU_DEP_1)
	v_fmac_f64_e32 v[28:29], v[30:31], v[34:35]
	ds_load_b64 v[30:31], v19 offset:16
	s_wait_dscnt 0x0
	v_fmac_f64_e32 v[28:29], v[38:39], v[30:31]
	s_wait_loadcnt 0x0
	v_mul_f64_e32 v[28:29], v[28:29], v[36:37]
	ds_store_b64 v18, v[28:29]
.LBB2_14:
	s_or_b32 exec_lo, exec_lo, s2
	v_sub_nc_u32_e32 v25, v9, v21
	v_cmp_gt_u32_e64 s2, 4, v22
	v_mul_hi_u32_u24_e32 v9, 0x48, v26
	v_lshl_add_u32 v22, v4, 5, 0x460
	s_xor_b32 s6, s1, -1
	v_add3_u32 v21, v25, v6, v27
	s_and_b32 s6, s2, s6
	s_wait_dscnt 0x0
	s_barrier_signal -1
	s_barrier_wait -1
	s_and_saveexec_b32 s2, s6
	s_cbranch_execz .LBB2_16
; %bb.15:
	ds_load_b128 v[28:31], v22
	ds_load_b128 v[32:35], v15
	ds_load_b128 v[36:39], v15 offset:16
	ds_load_b128 v[40:43], v22 offset:16
	s_wait_dscnt 0x2
	v_fma_f64 v[28:29], v[32:33], v[28:29], 0
	s_delay_alu instid0(VALU_DEP_1) | instskip(SKIP_1) | instid1(VALU_DEP_1)
	v_fmac_f64_e32 v[28:29], v[34:35], v[30:31]
	s_wait_dscnt 0x0
	v_fmac_f64_e32 v[28:29], v[36:37], v[40:41]
	s_delay_alu instid0(VALU_DEP_1)
	v_fmac_f64_e32 v[28:29], v[38:39], v[42:43]
	ds_store_b64 v21, v[28:29]
.LBB2_16:
	s_or_b32 exec_lo, exec_lo, s2
	v_mad_i32_i24 v28, 0xffffffc8, v26, v24
	v_cmp_lt_u32_e64 s2, 3, v26
	v_add_nc_u32_e32 v24, v25, v27
	v_lshl_add_u32 v25, v23, 5, 0x460
	s_wait_dscnt 0x0
	v_add3_u32 v23, v28, v6, v27
	s_or_b32 s0, s2, s0
	s_barrier_signal -1
	s_nor_b32 s0, s0, s1
	s_barrier_wait -1
	s_and_saveexec_b32 s1, s0
	s_cbranch_execz .LBB2_18
; %bb.17:
	ds_load_2addr_b64 v[28:31], v24 offset1:3
	ds_load_b128 v[32:35], v25
	ds_load_b128 v[36:39], v25 offset:16
	s_wait_dscnt 0x1
	v_fma_f64 v[32:33], v[28:29], v[32:33], 0
	s_delay_alu instid0(VALU_DEP_1) | instskip(SKIP_3) | instid1(VALU_DEP_1)
	v_fmac_f64_e32 v[32:33], v[30:31], v[34:35]
	ds_load_2addr_b64 v[28:31], v24 offset0:6 offset1:9
	s_wait_dscnt 0x0
	v_fmac_f64_e32 v[32:33], v[28:29], v[36:37]
	v_fmac_f64_e32 v[32:33], v[30:31], v[38:39]
	ds_store_b64 v23, v[32:33]
.LBB2_18:
	s_or_b32 exec_lo, exec_lo, s1
	v_add_nc_u64_e32 v[28:29], s[10:11], v[6:7]
	v_add3_u32 v6, v6, v27, 0x200
	v_lshl_add_u32 v7, v26, 5, 0x460
	s_wait_dscnt 0x0
	s_barrier_signal -1
	s_barrier_wait -1
	s_delay_alu instid0(VALU_DEP_3) | instskip(NEXT) | instid1(VALU_DEP_1)
	v_lshl_add_u64 v[4:5], v[4:5], 3, v[28:29]
	v_add_nc_u64_e32 v[4:5], v[4:5], v[8:9]
	s_delay_alu instid0(VALU_DEP_1)
	v_add_nc_u64_e32 v[4:5], s[4:5], v[4:5]
	s_and_saveexec_b32 s1, s12
	s_cbranch_execz .LBB2_20
; %bb.19:
	ds_load_2addr_b64 v[26:29], v6 offset1:9
	ds_load_b128 v[30:33], v7
	ds_load_b128 v[34:37], v7 offset:16
	s_wait_dscnt 0x1
	v_fma_f64 v[8:9], v[26:27], v[30:31], 0
	s_delay_alu instid0(VALU_DEP_1) | instskip(SKIP_3) | instid1(VALU_DEP_1)
	v_fmac_f64_e32 v[8:9], v[28:29], v[32:33]
	ds_load_2addr_b64 v[26:29], v6 offset0:18 offset1:27
	s_wait_dscnt 0x0
	v_fmac_f64_e32 v[8:9], v[26:27], v[34:35]
	v_fmac_f64_e32 v[8:9], v[28:29], v[36:37]
	global_store_b64 v[4:5], v[8:9], off
.LBB2_20:
	s_wait_xcnt 0x0
	s_or_b32 exec_lo, exec_lo, s1
	s_wait_storecnt 0x0
	s_barrier_signal -1
	s_barrier_wait -1
	s_and_saveexec_b32 s1, s12
	s_cbranch_execz .LBB2_22
; %bb.21:
	global_load_b64 v[8:9], v[0:1], off offset:216
	s_wait_loadcnt 0x0
	ds_store_b64 v13, v[8:9]
.LBB2_22:
	s_or_b32 exec_lo, exec_lo, s1
	s_wait_dscnt 0x0
	s_barrier_signal -1
	s_barrier_wait -1
	s_and_saveexec_b32 s1, s13
	s_cbranch_execz .LBB2_24
; %bb.23:
	ds_load_2addr_b64 v[26:29], v11 offset1:1
	ds_load_2addr_b64 v[30:33], v10 offset1:1
	ds_load_b64 v[8:9], v10 offset:16
	ds_load_b64 v[34:35], v11 offset:16
	s_wait_dscnt 0x2
	v_fma_f64 v[26:27], v[30:31], v[26:27], 0
	s_delay_alu instid0(VALU_DEP_1) | instskip(SKIP_1) | instid1(VALU_DEP_1)
	v_fmac_f64_e32 v[26:27], v[32:33], v[28:29]
	s_wait_dscnt 0x0
	v_fmac_f64_e32 v[26:27], v[8:9], v[34:35]
	ds_store_b64 v12, v[26:27]
.LBB2_24:
	s_or_b32 exec_lo, exec_lo, s1
	s_wait_dscnt 0x0
	s_barrier_signal -1
	s_barrier_wait -1
	s_and_saveexec_b32 s1, s3
	s_cbranch_execz .LBB2_26
; %bb.25:
	ds_load_2addr_b64 v[26:29], v17 offset1:4
	ds_load_2addr_b64 v[30:33], v14 offset1:1
	ds_load_b64 v[8:9], v17 offset:64
	s_wait_dscnt 0x1
	v_fma_f64 v[26:27], v[26:27], v[30:31], 0
	s_delay_alu instid0(VALU_DEP_1)
	v_fmac_f64_e32 v[26:27], v[28:29], v[32:33]
	ds_load_b64 v[28:29], v14 offset:16
	s_wait_dscnt 0x0
	v_fmac_f64_e32 v[26:27], v[8:9], v[28:29]
	ds_store_b64 v16, v[26:27]
.LBB2_26:
	s_or_b32 exec_lo, exec_lo, s1
	s_wait_dscnt 0x0
	s_barrier_signal -1
	s_barrier_wait -1
	s_and_saveexec_b32 s1, vcc_lo
	s_cbranch_execz .LBB2_28
; %bb.27:
	global_load_b64 v[8:9], v[2:3], off
	ds_load_2addr_b64 v[26:29], v20 offset1:16
	ds_load_2addr_b64 v[30:33], v19 offset1:1
	ds_load_b64 v[34:35], v20 offset:256
	s_wait_dscnt 0x1
	v_fma_f64 v[26:27], v[26:27], v[30:31], 0
	s_delay_alu instid0(VALU_DEP_1) | instskip(SKIP_4) | instid1(VALU_DEP_1)
	v_fmac_f64_e32 v[26:27], v[28:29], v[32:33]
	ds_load_b64 v[28:29], v19 offset:16
	s_wait_dscnt 0x0
	v_fmac_f64_e32 v[26:27], v[34:35], v[28:29]
	s_wait_loadcnt 0x0
	v_mul_f64_e32 v[8:9], v[26:27], v[8:9]
	ds_store_b64 v18, v[8:9]
.LBB2_28:
	s_or_b32 exec_lo, exec_lo, s1
	s_wait_dscnt 0x0
	s_barrier_signal -1
	s_barrier_wait -1
	s_and_saveexec_b32 s1, s6
	s_cbranch_execz .LBB2_30
; %bb.29:
	ds_load_b128 v[26:29], v22
	ds_load_b128 v[30:33], v15
	ds_load_b128 v[34:37], v15 offset:16
	ds_load_b128 v[38:41], v22 offset:16
	s_wait_dscnt 0x2
	v_fma_f64 v[8:9], v[30:31], v[26:27], 0
	s_delay_alu instid0(VALU_DEP_1) | instskip(SKIP_1) | instid1(VALU_DEP_1)
	v_fmac_f64_e32 v[8:9], v[32:33], v[28:29]
	s_wait_dscnt 0x0
	v_fmac_f64_e32 v[8:9], v[34:35], v[38:39]
	s_delay_alu instid0(VALU_DEP_1)
	v_fmac_f64_e32 v[8:9], v[36:37], v[40:41]
	ds_store_b64 v21, v[8:9]
.LBB2_30:
	s_or_b32 exec_lo, exec_lo, s1
	s_wait_dscnt 0x0
	s_barrier_signal -1
	s_barrier_wait -1
	s_and_saveexec_b32 s1, s0
	s_cbranch_execz .LBB2_32
; %bb.31:
	ds_load_2addr_b64 v[26:29], v24 offset1:3
	ds_load_b128 v[30:33], v25
	ds_load_b128 v[34:37], v25 offset:16
	s_wait_dscnt 0x1
	v_fma_f64 v[8:9], v[26:27], v[30:31], 0
	s_delay_alu instid0(VALU_DEP_1) | instskip(SKIP_3) | instid1(VALU_DEP_1)
	v_fmac_f64_e32 v[8:9], v[28:29], v[32:33]
	ds_load_2addr_b64 v[26:29], v24 offset0:6 offset1:9
	s_wait_dscnt 0x0
	v_fmac_f64_e32 v[8:9], v[26:27], v[34:35]
	v_fmac_f64_e32 v[8:9], v[28:29], v[36:37]
	ds_store_b64 v23, v[8:9]
.LBB2_32:
	s_or_b32 exec_lo, exec_lo, s1
	s_wait_dscnt 0x0
	s_barrier_signal -1
	s_barrier_wait -1
	s_and_saveexec_b32 s1, s12
	s_cbranch_execz .LBB2_34
; %bb.33:
	ds_load_2addr_b64 v[26:29], v6 offset1:9
	ds_load_b128 v[30:33], v7
	ds_load_b128 v[34:37], v7 offset:16
	s_wait_dscnt 0x1
	v_fma_f64 v[8:9], v[26:27], v[30:31], 0
	s_delay_alu instid0(VALU_DEP_1) | instskip(SKIP_3) | instid1(VALU_DEP_1)
	v_fmac_f64_e32 v[8:9], v[28:29], v[32:33]
	ds_load_2addr_b64 v[26:29], v6 offset0:18 offset1:27
	s_wait_dscnt 0x0
	v_fmac_f64_e32 v[8:9], v[26:27], v[34:35]
	v_fmac_f64_e32 v[8:9], v[28:29], v[36:37]
	global_store_b64 v[4:5], v[8:9], off offset:216
.LBB2_34:
	s_wait_xcnt 0x0
	s_or_b32 exec_lo, exec_lo, s1
	s_wait_storecnt 0x0
	s_barrier_signal -1
	s_barrier_wait -1
	s_and_saveexec_b32 s1, s12
	s_cbranch_execz .LBB2_36
; %bb.35:
	global_load_b64 v[0:1], v[0:1], off offset:432
	s_wait_loadcnt 0x0
	ds_store_b64 v13, v[0:1]
.LBB2_36:
	s_or_b32 exec_lo, exec_lo, s1
	s_wait_dscnt 0x0
	s_barrier_signal -1
	s_barrier_wait -1
	s_and_saveexec_b32 s1, s13
	s_cbranch_execz .LBB2_38
; %bb.37:
	ds_load_2addr_b64 v[26:29], v11 offset1:1
	ds_load_2addr_b64 v[30:33], v10 offset1:1
	ds_load_b64 v[0:1], v10 offset:16
	ds_load_b64 v[8:9], v11 offset:16
	s_wait_dscnt 0x2
	v_fma_f64 v[10:11], v[30:31], v[26:27], 0
	s_delay_alu instid0(VALU_DEP_1) | instskip(SKIP_1) | instid1(VALU_DEP_1)
	v_fmac_f64_e32 v[10:11], v[32:33], v[28:29]
	s_wait_dscnt 0x0
	v_fmac_f64_e32 v[10:11], v[0:1], v[8:9]
	ds_store_b64 v12, v[10:11]
.LBB2_38:
	s_or_b32 exec_lo, exec_lo, s1
	s_wait_dscnt 0x0
	s_barrier_signal -1
	s_barrier_wait -1
	s_and_saveexec_b32 s1, s3
	s_cbranch_execz .LBB2_40
; %bb.39:
	ds_load_2addr_b64 v[8:11], v17 offset1:4
	ds_load_2addr_b64 v[26:29], v14 offset1:1
	ds_load_b64 v[0:1], v17 offset:64
	s_wait_dscnt 0x1
	v_fma_f64 v[8:9], v[8:9], v[26:27], 0
	s_delay_alu instid0(VALU_DEP_1)
	v_fmac_f64_e32 v[8:9], v[10:11], v[28:29]
	ds_load_b64 v[10:11], v14 offset:16
	s_wait_dscnt 0x0
	v_fmac_f64_e32 v[8:9], v[0:1], v[10:11]
	ds_store_b64 v16, v[8:9]
.LBB2_40:
	s_or_b32 exec_lo, exec_lo, s1
	s_wait_dscnt 0x0
	s_barrier_signal -1
	s_barrier_wait -1
	s_and_saveexec_b32 s1, vcc_lo
	s_cbranch_execz .LBB2_42
; %bb.41:
	global_load_b64 v[12:13], v[2:3], off
	s_wait_xcnt 0x0
	ds_load_2addr_b64 v[0:3], v20 offset1:16
	ds_load_2addr_b64 v[8:11], v19 offset1:1
	ds_load_b64 v[16:17], v20 offset:256
	s_wait_dscnt 0x1
	v_fma_f64 v[0:1], v[0:1], v[8:9], 0
	s_delay_alu instid0(VALU_DEP_1) | instskip(SKIP_4) | instid1(VALU_DEP_1)
	v_fmac_f64_e32 v[0:1], v[2:3], v[10:11]
	ds_load_b64 v[2:3], v19 offset:16
	s_wait_dscnt 0x0
	v_fmac_f64_e32 v[0:1], v[16:17], v[2:3]
	s_wait_loadcnt 0x0
	v_mul_f64_e32 v[0:1], v[0:1], v[12:13]
	ds_store_b64 v18, v[0:1]
.LBB2_42:
	s_or_b32 exec_lo, exec_lo, s1
	s_wait_dscnt 0x0
	s_barrier_signal -1
	s_barrier_wait -1
	s_and_saveexec_b32 s1, s6
	s_cbranch_execz .LBB2_44
; %bb.43:
	ds_load_b128 v[0:3], v22
	ds_load_b128 v[8:11], v15
	ds_load_b128 v[12:15], v15 offset:16
	ds_load_b128 v[16:19], v22 offset:16
	s_wait_dscnt 0x2
	v_fma_f64 v[0:1], v[8:9], v[0:1], 0
	s_delay_alu instid0(VALU_DEP_1) | instskip(SKIP_1) | instid1(VALU_DEP_1)
	v_fmac_f64_e32 v[0:1], v[10:11], v[2:3]
	s_wait_dscnt 0x0
	v_fmac_f64_e32 v[0:1], v[12:13], v[16:17]
	s_delay_alu instid0(VALU_DEP_1)
	v_fmac_f64_e32 v[0:1], v[14:15], v[18:19]
	ds_store_b64 v21, v[0:1]
.LBB2_44:
	s_or_b32 exec_lo, exec_lo, s1
	s_wait_dscnt 0x0
	s_barrier_signal -1
	s_barrier_wait -1
	s_and_saveexec_b32 s1, s0
	s_cbranch_execz .LBB2_46
; %bb.45:
	ds_load_2addr_b64 v[0:3], v24 offset1:3
	ds_load_b128 v[8:11], v25
	ds_load_b128 v[12:15], v25 offset:16
	s_wait_dscnt 0x1
	v_fma_f64 v[8:9], v[0:1], v[8:9], 0
	s_delay_alu instid0(VALU_DEP_1) | instskip(SKIP_3) | instid1(VALU_DEP_1)
	v_fmac_f64_e32 v[8:9], v[2:3], v[10:11]
	ds_load_2addr_b64 v[0:3], v24 offset0:6 offset1:9
	s_wait_dscnt 0x0
	v_fmac_f64_e32 v[8:9], v[0:1], v[12:13]
	v_fmac_f64_e32 v[8:9], v[2:3], v[14:15]
	ds_store_b64 v23, v[8:9]
.LBB2_46:
	s_or_b32 exec_lo, exec_lo, s1
	s_wait_dscnt 0x0
	s_barrier_signal -1
	s_barrier_wait -1
	s_and_saveexec_b32 s0, s12
	s_cbranch_execz .LBB2_48
; %bb.47:
	ds_load_2addr_b64 v[0:3], v6 offset1:9
	ds_load_b128 v[8:11], v7
	ds_load_b128 v[12:15], v7 offset:16
	s_wait_dscnt 0x1
	v_fma_f64 v[8:9], v[0:1], v[8:9], 0
	s_delay_alu instid0(VALU_DEP_1) | instskip(SKIP_3) | instid1(VALU_DEP_1)
	v_fmac_f64_e32 v[8:9], v[2:3], v[10:11]
	ds_load_2addr_b64 v[0:3], v6 offset0:18 offset1:27
	s_wait_dscnt 0x0
	v_fmac_f64_e32 v[8:9], v[0:1], v[12:13]
	v_fmac_f64_e32 v[8:9], v[2:3], v[14:15]
	global_store_b64 v[4:5], v[8:9], off offset:432
.LBB2_48:
	s_wait_xcnt 0x0
	s_or_b32 exec_lo, exec_lo, s0
	s_wait_storecnt 0x0
	s_barrier_signal -1
	s_barrier_wait -1
	s_endpgm
	.section	.rodata,"a",@progbits
	.p2align	6, 0x0
	.amdhsa_kernel _ZN8rajaperf4apps17MassVec3DPADirectILm64EEEvPdS2_S2_S2_
		.amdhsa_group_segment_fixed_size 1216
		.amdhsa_private_segment_fixed_size 0
		.amdhsa_kernarg_size 32
		.amdhsa_user_sgpr_count 2
		.amdhsa_user_sgpr_dispatch_ptr 0
		.amdhsa_user_sgpr_queue_ptr 0
		.amdhsa_user_sgpr_kernarg_segment_ptr 1
		.amdhsa_user_sgpr_dispatch_id 0
		.amdhsa_user_sgpr_kernarg_preload_length 0
		.amdhsa_user_sgpr_kernarg_preload_offset 0
		.amdhsa_user_sgpr_private_segment_size 0
		.amdhsa_wavefront_size32 1
		.amdhsa_uses_dynamic_stack 0
		.amdhsa_enable_private_segment 0
		.amdhsa_system_sgpr_workgroup_id_x 1
		.amdhsa_system_sgpr_workgroup_id_y 0
		.amdhsa_system_sgpr_workgroup_id_z 0
		.amdhsa_system_sgpr_workgroup_info 0
		.amdhsa_system_vgpr_workitem_id 2
		.amdhsa_next_free_vgpr 44
		.amdhsa_next_free_sgpr 14
		.amdhsa_named_barrier_count 0
		.amdhsa_reserve_vcc 1
		.amdhsa_float_round_mode_32 0
		.amdhsa_float_round_mode_16_64 0
		.amdhsa_float_denorm_mode_32 3
		.amdhsa_float_denorm_mode_16_64 3
		.amdhsa_fp16_overflow 0
		.amdhsa_memory_ordered 1
		.amdhsa_forward_progress 1
		.amdhsa_inst_pref_size 21
		.amdhsa_round_robin_scheduling 0
		.amdhsa_exception_fp_ieee_invalid_op 0
		.amdhsa_exception_fp_denorm_src 0
		.amdhsa_exception_fp_ieee_div_zero 0
		.amdhsa_exception_fp_ieee_overflow 0
		.amdhsa_exception_fp_ieee_underflow 0
		.amdhsa_exception_fp_ieee_inexact 0
		.amdhsa_exception_int_div_zero 0
	.end_amdhsa_kernel
	.section	.text._ZN8rajaperf4apps17MassVec3DPADirectILm64EEEvPdS2_S2_S2_,"axG",@progbits,_ZN8rajaperf4apps17MassVec3DPADirectILm64EEEvPdS2_S2_S2_,comdat
.Lfunc_end2:
	.size	_ZN8rajaperf4apps17MassVec3DPADirectILm64EEEvPdS2_S2_S2_, .Lfunc_end2-_ZN8rajaperf4apps17MassVec3DPADirectILm64EEEvPdS2_S2_S2_
                                        ; -- End function
	.set _ZN8rajaperf4apps17MassVec3DPADirectILm64EEEvPdS2_S2_S2_.num_vgpr, 44
	.set _ZN8rajaperf4apps17MassVec3DPADirectILm64EEEvPdS2_S2_S2_.num_agpr, 0
	.set _ZN8rajaperf4apps17MassVec3DPADirectILm64EEEvPdS2_S2_S2_.numbered_sgpr, 14
	.set _ZN8rajaperf4apps17MassVec3DPADirectILm64EEEvPdS2_S2_S2_.num_named_barrier, 0
	.set _ZN8rajaperf4apps17MassVec3DPADirectILm64EEEvPdS2_S2_S2_.private_seg_size, 0
	.set _ZN8rajaperf4apps17MassVec3DPADirectILm64EEEvPdS2_S2_S2_.uses_vcc, 1
	.set _ZN8rajaperf4apps17MassVec3DPADirectILm64EEEvPdS2_S2_S2_.uses_flat_scratch, 0
	.set _ZN8rajaperf4apps17MassVec3DPADirectILm64EEEvPdS2_S2_S2_.has_dyn_sized_stack, 0
	.set _ZN8rajaperf4apps17MassVec3DPADirectILm64EEEvPdS2_S2_S2_.has_recursion, 0
	.set _ZN8rajaperf4apps17MassVec3DPADirectILm64EEEvPdS2_S2_S2_.has_indirect_call, 0
	.section	.AMDGPU.csdata,"",@progbits
; Kernel info:
; codeLenInByte = 2660
; TotalNumSgprs: 16
; NumVgprs: 44
; ScratchSize: 0
; MemoryBound: 1
; FloatMode: 240
; IeeeMode: 1
; LDSByteSize: 1216 bytes/workgroup (compile time only)
; SGPRBlocks: 0
; VGPRBlocks: 2
; NumSGPRsForWavesPerEU: 16
; NumVGPRsForWavesPerEU: 44
; NamedBarCnt: 0
; Occupancy: 16
; WaveLimiterHint : 0
; COMPUTE_PGM_RSRC2:SCRATCH_EN: 0
; COMPUTE_PGM_RSRC2:USER_SGPR: 2
; COMPUTE_PGM_RSRC2:TRAP_HANDLER: 0
; COMPUTE_PGM_RSRC2:TGID_X_EN: 1
; COMPUTE_PGM_RSRC2:TGID_Y_EN: 0
; COMPUTE_PGM_RSRC2:TGID_Z_EN: 0
; COMPUTE_PGM_RSRC2:TIDIG_COMP_CNT: 2
	.section	.text._ZN4RAJA34launch_new_reduce_global_fcn_fixedIZN8rajaperf4apps11MASSVEC3DPA17runHipVariantImplILm64ELm1EEEvNS1_9VariantIDEEUlNS_14LaunchContextTINS_3hip33LaunchContextIndicesAndDimsPolicyINS7_14IndicesAndDimsILb0ELb0ELb0ELb0EEEEEEEE_Li64ENS_4expt15ForallParamPackIJEEEEEvT_T1_,"axG",@progbits,_ZN4RAJA34launch_new_reduce_global_fcn_fixedIZN8rajaperf4apps11MASSVEC3DPA17runHipVariantImplILm64ELm1EEEvNS1_9VariantIDEEUlNS_14LaunchContextTINS_3hip33LaunchContextIndicesAndDimsPolicyINS7_14IndicesAndDimsILb0ELb0ELb0ELb0EEEEEEEE_Li64ENS_4expt15ForallParamPackIJEEEEEvT_T1_,comdat
	.protected	_ZN4RAJA34launch_new_reduce_global_fcn_fixedIZN8rajaperf4apps11MASSVEC3DPA17runHipVariantImplILm64ELm1EEEvNS1_9VariantIDEEUlNS_14LaunchContextTINS_3hip33LaunchContextIndicesAndDimsPolicyINS7_14IndicesAndDimsILb0ELb0ELb0ELb0EEEEEEEE_Li64ENS_4expt15ForallParamPackIJEEEEEvT_T1_ ; -- Begin function _ZN4RAJA34launch_new_reduce_global_fcn_fixedIZN8rajaperf4apps11MASSVEC3DPA17runHipVariantImplILm64ELm1EEEvNS1_9VariantIDEEUlNS_14LaunchContextTINS_3hip33LaunchContextIndicesAndDimsPolicyINS7_14IndicesAndDimsILb0ELb0ELb0ELb0EEEEEEEE_Li64ENS_4expt15ForallParamPackIJEEEEEvT_T1_
	.globl	_ZN4RAJA34launch_new_reduce_global_fcn_fixedIZN8rajaperf4apps11MASSVEC3DPA17runHipVariantImplILm64ELm1EEEvNS1_9VariantIDEEUlNS_14LaunchContextTINS_3hip33LaunchContextIndicesAndDimsPolicyINS7_14IndicesAndDimsILb0ELb0ELb0ELb0EEEEEEEE_Li64ENS_4expt15ForallParamPackIJEEEEEvT_T1_
	.p2align	8
	.type	_ZN4RAJA34launch_new_reduce_global_fcn_fixedIZN8rajaperf4apps11MASSVEC3DPA17runHipVariantImplILm64ELm1EEEvNS1_9VariantIDEEUlNS_14LaunchContextTINS_3hip33LaunchContextIndicesAndDimsPolicyINS7_14IndicesAndDimsILb0ELb0ELb0ELb0EEEEEEEE_Li64ENS_4expt15ForallParamPackIJEEEEEvT_T1_,@function
_ZN4RAJA34launch_new_reduce_global_fcn_fixedIZN8rajaperf4apps11MASSVEC3DPA17runHipVariantImplILm64ELm1EEEvNS1_9VariantIDEEUlNS_14LaunchContextTINS_3hip33LaunchContextIndicesAndDimsPolicyINS7_14IndicesAndDimsILb0ELb0ELb0ELb0EEEEEEEE_Li64ENS_4expt15ForallParamPackIJEEEEEvT_T1_: ; @_ZN4RAJA34launch_new_reduce_global_fcn_fixedIZN8rajaperf4apps11MASSVEC3DPA17runHipVariantImplILm64ELm1EEEvNS1_9VariantIDEEUlNS_14LaunchContextTINS_3hip33LaunchContextIndicesAndDimsPolicyINS7_14IndicesAndDimsILb0ELb0ELb0ELb0EEEEEEEE_Li64ENS_4expt15ForallParamPackIJEEEEEvT_T1_
; %bb.0:
	s_load_b64 s[2:3], s[0:1], 0x0
	s_bfe_u32 s4, ttmp6, 0x4000c
	s_and_b32 s5, ttmp6, 15
	s_add_co_i32 s4, s4, 1
	s_getreg_b32 s6, hwreg(HW_REG_IB_STS2, 6, 4)
	s_mul_i32 s4, ttmp9, s4
	s_mov_b32 s11, 0
	s_add_co_i32 s5, s5, s4
	s_cmp_eq_u32 s6, 0
	s_cselect_b32 s10, ttmp9, s5
	s_wait_kmcnt 0x0
	v_cmp_le_i64_e64 s2, s[2:3], s[10:11]
	s_and_b32 vcc_lo, exec_lo, s2
	s_cbranch_vccnz .LBB3_46
; %bb.1:
	s_clause 0x1
	s_load_b128 s[4:7], s[0:1], 0x10
	s_load_b64 s[8:9], s[0:1], 0x20
	v_bfe_u32 v23, v0, 10, 10
	v_and_b32_e32 v10, 0x3ff, v0
	v_bfe_u32 v26, v0, 20, 10
	s_delay_alu instid0(VALU_DEP_3) | instskip(SKIP_1) | instid1(VALU_DEP_4)
	v_dual_mov_b32 v13, 0 :: v_dual_lshlrev_b32 v2, 5, v23
	v_cmp_gt_u32_e32 vcc_lo, 3, v23
	v_cmp_gt_u32_e64 s2, 4, v10
	s_delay_alu instid0(VALU_DEP_4) | instskip(SKIP_2) | instid1(SALU_CYCLE_1)
	v_cmp_eq_u32_e64 s3, 0, v26
	v_lshlrev_b32_e32 v6, 3, v10
	s_and_b32 s2, vcc_lo, s2
	s_and_b32 s3, s2, s3
	s_delay_alu instid0(SALU_CYCLE_1)
	s_and_saveexec_b32 s2, s3
	s_cbranch_execz .LBB3_3
; %bb.2:
	s_wait_xcnt 0x0
	s_load_b64 s[0:1], s[0:1], 0x8
	v_dual_mov_b32 v7, v13 :: v_dual_mov_b32 v3, v13
	v_add_nc_u32_e32 v4, v2, v6
	s_wait_kmcnt 0x0
	s_delay_alu instid0(VALU_DEP_2) | instskip(NEXT) | instid1(VALU_DEP_1)
	v_add_nc_u64_e32 v[0:1], s[0:1], v[6:7]
	v_add_nc_u64_e32 v[0:1], v[0:1], v[2:3]
	v_lshlrev_b32_e32 v3, 3, v23
	s_delay_alu instid0(VALU_DEP_1)
	v_mad_u32_u24 v3, v10, 24, v3
	global_load_b64 v[0:1], v[0:1], off
	s_wait_loadcnt 0x0
	ds_store_b64 v3, v[0:1] offset:1024
	ds_store_b64 v4, v[0:1] offset:1120
.LBB3_3:
	s_or_b32 exec_lo, exec_lo, s2
	v_lshlrev_b32_e32 v12, 3, v10
	v_mul_u32_u24_e32 v8, 24, v23
	v_cmp_lt_u32_e32 vcc_lo, 2, v26
	s_wait_xcnt 0x0
	v_cmp_lt_u32_e64 s0, 2, v23
	v_cmp_lt_u32_e64 s1, 2, v10
	s_wait_kmcnt 0x0
	v_add_nc_u64_e32 v[0:1], s[4:5], v[12:13]
	v_mad_u32_u24 v11, 0x48, v26, v8
	s_mul_u64 s[4:5], s[10:11], 0x288
	s_or_b32 s3, vcc_lo, s0
	s_delay_alu instid0(SALU_CYCLE_1) | instskip(NEXT) | instid1(VALU_DEP_1)
	s_nor_b32 s12, s3, s1
	v_add_nc_u32_e32 v15, v11, v12
	s_delay_alu instid0(VALU_DEP_3) | instskip(NEXT) | instid1(VALU_DEP_1)
	v_mad_co_u64_u32 v[0:1], null, v23, 24, v[0:1]
	v_mad_co_u64_u32 v[0:1], null, 0x48, v26, v[0:1]
	s_delay_alu instid0(VALU_DEP_1)
	v_add_nc_u64_e32 v[0:1], s[4:5], v[0:1]
	s_and_saveexec_b32 s2, s12
	s_cbranch_execz .LBB3_5
; %bb.4:
	global_load_b64 v[4:5], v[0:1], off
	s_wait_loadcnt 0x0
	ds_store_b64 v15, v[4:5]
.LBB3_5:
	s_or_b32 exec_lo, exec_lo, s2
	s_movk_i32 s2, 0x60
	v_mul_u32_u24_e32 v4, 0x48, v26
	v_mad_u32_u24 v9, v26, s2, 0x200
	v_cmp_lt_u32_e64 s2, 3, v10
	v_mad_u32_u24 v13, v10, 24, 0x400
	s_wait_dscnt 0x0
	s_barrier_signal -1
	v_add3_u32 v12, v9, v2, v12
	s_nor_b32 s13, s3, s2
	s_barrier_wait -1
	s_and_saveexec_b32 s3, s13
	s_cbranch_execz .LBB3_7
; %bb.6:
	ds_load_2addr_b64 v[16:19], v13 offset1:1
	ds_load_2addr_b64 v[28:31], v11 offset1:1
	ds_load_b64 v[20:21], v11 offset:16
	ds_load_b64 v[24:25], v13 offset:16
	s_wait_dscnt 0x2
	v_fma_f64 v[16:17], v[28:29], v[16:17], 0
	s_delay_alu instid0(VALU_DEP_1) | instskip(SKIP_1) | instid1(VALU_DEP_1)
	v_fmac_f64_e32 v[16:17], v[30:31], v[18:19]
	s_wait_dscnt 0x0
	v_fmac_f64_e32 v[16:17], v[20:21], v[24:25]
	ds_store_b64 v12, v[16:17]
.LBB3_7:
	s_or_b32 exec_lo, exec_lo, s3
	v_mad_u32 v14, v23, 24, 0x400
	v_mad_u32_u24 v5, v26, 56, v4
	v_cmp_lt_u32_e64 s3, 3, v23
	v_add_nc_u32_e32 v17, v9, v6
	s_wait_dscnt 0x0
	s_barrier_signal -1
	v_add3_u32 v16, v5, v2, v6
	s_or_b32 s3, vcc_lo, s3
	s_barrier_wait -1
	s_nor_b32 s3, s3, s2
	s_delay_alu instid0(SALU_CYCLE_1)
	s_and_saveexec_b32 s2, s3
	s_cbranch_execz .LBB3_9
; %bb.8:
	ds_load_2addr_b64 v[18:21], v17 offset1:4
	ds_load_2addr_b64 v[28:31], v14 offset1:1
	ds_load_b64 v[24:25], v17 offset:64
	s_wait_dscnt 0x1
	v_fma_f64 v[18:19], v[18:19], v[28:29], 0
	s_delay_alu instid0(VALU_DEP_1)
	v_fmac_f64_e32 v[18:19], v[20:21], v[30:31]
	ds_load_b64 v[20:21], v14 offset:16
	s_wait_dscnt 0x0
	v_fmac_f64_e32 v[18:19], v[24:25], v[20:21]
	ds_store_b64 v16, v[18:19]
.LBB3_9:
	s_or_b32 exec_lo, exec_lo, s2
	v_dual_mov_b32 v3, 0 :: v_dual_lshlrev_b32 v22, 5, v26
	s_wait_dscnt 0x0
	s_barrier_signal -1
	s_barrier_wait -1
	s_delay_alu instid0(VALU_DEP_1) | instskip(SKIP_1) | instid1(VALU_DEP_2)
	v_dual_mov_b32 v7, v3 :: v_dual_lshlrev_b32 v20, 7, v26
	v_mov_b32_e32 v21, v3
	v_add_nc_u64_e32 v[18:19], s[6:7], v[6:7]
	v_dual_add_nc_u32 v7, v9, v22 :: v_dual_bitop2_b32 v25, v26, v23 bitop3:0x54
	s_lshl_b64 s[6:7], s[10:11], 9
	s_delay_alu instid0(VALU_DEP_2) | instskip(NEXT) | instid1(VALU_DEP_1)
	v_add_nc_u64_e32 v[18:19], v[18:19], v[2:3]
	v_add_nc_u64_e32 v[28:29], v[18:19], v[20:21]
	s_delay_alu instid0(VALU_DEP_3) | instskip(SKIP_3) | instid1(VALU_DEP_4)
	v_add_nc_u32_e32 v18, v7, v2
	v_or_b32_e32 v9, v25, v10
	v_add_nc_u32_e32 v19, v2, v6
	v_mad_u32_u24 v21, v26, 24, 0x400
	v_add_nc_u32_e32 v20, v18, v6
	v_add_nc_u64_e32 v[2:3], s[6:7], v[28:29]
	v_cmp_gt_u32_e32 vcc_lo, 4, v9
	s_and_saveexec_b32 s2, vcc_lo
	s_cbranch_execz .LBB3_11
; %bb.10:
	global_load_b64 v[36:37], v[2:3], off
	ds_load_2addr_b64 v[28:31], v19 offset1:16
	ds_load_2addr_b64 v[32:35], v21 offset1:1
	ds_load_b64 v[38:39], v19 offset:256
	s_wait_dscnt 0x1
	v_fma_f64 v[28:29], v[28:29], v[32:33], 0
	s_delay_alu instid0(VALU_DEP_1) | instskip(SKIP_4) | instid1(VALU_DEP_1)
	v_fmac_f64_e32 v[28:29], v[30:31], v[34:35]
	ds_load_b64 v[30:31], v21 offset:16
	s_wait_dscnt 0x0
	v_fmac_f64_e32 v[28:29], v[38:39], v[30:31]
	s_wait_loadcnt 0x0
	v_mul_f64_e32 v[28:29], v[36:37], v[28:29]
	ds_store_b64 v20, v[28:29]
.LBB3_11:
	s_or_b32 exec_lo, exec_lo, s2
	v_sub_nc_u32_e32 v24, v5, v22
	v_cmp_gt_u32_e64 s2, 4, v25
	v_mul_hi_u32_u24_e32 v9, 24, v23
	v_mul_hi_u32_u24_e32 v5, 0x48, v26
	v_lshl_add_u32 v22, v10, 5, 0x460
	v_add3_u32 v10, v24, v8, v6
	s_xor_b32 s6, s1, -1
	s_wait_dscnt 0x0
	s_and_b32 s6, s2, s6
	s_barrier_signal -1
	s_barrier_wait -1
	s_and_saveexec_b32 s2, s6
	s_cbranch_execz .LBB3_13
; %bb.12:
	ds_load_b128 v[28:31], v22
	ds_load_b128 v[32:35], v18
	ds_load_b128 v[36:39], v18 offset:16
	ds_load_b128 v[40:43], v22 offset:16
	s_wait_dscnt 0x2
	v_fma_f64 v[28:29], v[32:33], v[28:29], 0
	s_delay_alu instid0(VALU_DEP_1) | instskip(SKIP_1) | instid1(VALU_DEP_1)
	v_fmac_f64_e32 v[28:29], v[34:35], v[30:31]
	s_wait_dscnt 0x0
	v_fmac_f64_e32 v[28:29], v[36:37], v[40:41]
	s_delay_alu instid0(VALU_DEP_1)
	v_fmac_f64_e32 v[28:29], v[38:39], v[42:43]
	ds_store_b64 v10, v[28:29]
.LBB3_13:
	s_or_b32 exec_lo, exec_lo, s2
	v_mad_i32_i24 v7, 0xffffffc8, v26, v7
	v_cmp_lt_u32_e64 s2, 3, v26
	v_add_nc_u32_e32 v24, v24, v6
	v_lshl_add_u32 v25, v23, 5, 0x460
	s_wait_dscnt 0x0
	v_add3_u32 v23, v7, v8, v6
	s_or_b32 s0, s2, s0
	s_barrier_signal -1
	s_nor_b32 s0, s0, s1
	s_barrier_wait -1
	s_and_saveexec_b32 s1, s0
	s_cbranch_execz .LBB3_15
; %bb.14:
	ds_load_2addr_b64 v[28:31], v24 offset1:3
	ds_load_b128 v[32:35], v25
	ds_load_b128 v[36:39], v25 offset:16
	s_wait_dscnt 0x1
	v_fma_f64 v[32:33], v[28:29], v[32:33], 0
	s_delay_alu instid0(VALU_DEP_1) | instskip(SKIP_3) | instid1(VALU_DEP_1)
	v_fmac_f64_e32 v[32:33], v[30:31], v[34:35]
	ds_load_2addr_b64 v[28:31], v24 offset0:6 offset1:9
	s_wait_dscnt 0x0
	v_fmac_f64_e32 v[32:33], v[28:29], v[36:37]
	v_fmac_f64_e32 v[32:33], v[30:31], v[38:39]
	ds_store_b64 v23, v[32:33]
.LBB3_15:
	s_or_b32 exec_lo, exec_lo, s1
	v_mov_b32_e32 v7, 0
	s_wait_dscnt 0x0
	s_barrier_signal -1
	s_barrier_wait -1
	s_delay_alu instid0(VALU_DEP_1) | instskip(SKIP_2) | instid1(VALU_DEP_3)
	v_add_nc_u64_e32 v[28:29], s[8:9], v[6:7]
	v_add3_u32 v6, v8, v6, 0x200
	v_lshl_add_u32 v7, v26, 5, 0x460
	v_add_nc_u64_e32 v[28:29], v[28:29], v[8:9]
	s_delay_alu instid0(VALU_DEP_1) | instskip(NEXT) | instid1(VALU_DEP_1)
	v_add_nc_u64_e32 v[4:5], v[28:29], v[4:5]
	v_add_nc_u64_e32 v[4:5], s[4:5], v[4:5]
	s_and_saveexec_b32 s1, s12
	s_cbranch_execz .LBB3_17
; %bb.16:
	ds_load_2addr_b64 v[26:29], v6 offset1:9
	ds_load_b128 v[30:33], v7
	ds_load_b128 v[34:37], v7 offset:16
	s_wait_dscnt 0x1
	v_fma_f64 v[8:9], v[26:27], v[30:31], 0
	s_delay_alu instid0(VALU_DEP_1) | instskip(SKIP_3) | instid1(VALU_DEP_1)
	v_fmac_f64_e32 v[8:9], v[28:29], v[32:33]
	ds_load_2addr_b64 v[26:29], v6 offset0:18 offset1:27
	s_wait_dscnt 0x0
	v_fmac_f64_e32 v[8:9], v[26:27], v[34:35]
	v_fmac_f64_e32 v[8:9], v[28:29], v[36:37]
	global_store_b64 v[4:5], v[8:9], off
.LBB3_17:
	s_wait_xcnt 0x0
	s_or_b32 exec_lo, exec_lo, s1
	s_wait_storecnt 0x0
	s_barrier_signal -1
	s_barrier_wait -1
	s_and_saveexec_b32 s1, s12
	s_cbranch_execz .LBB3_19
; %bb.18:
	global_load_b64 v[8:9], v[0:1], off offset:216
	s_wait_loadcnt 0x0
	ds_store_b64 v15, v[8:9]
.LBB3_19:
	s_or_b32 exec_lo, exec_lo, s1
	s_wait_dscnt 0x0
	s_barrier_signal -1
	s_barrier_wait -1
	s_and_saveexec_b32 s1, s13
	s_cbranch_execz .LBB3_21
; %bb.20:
	ds_load_2addr_b64 v[26:29], v13 offset1:1
	ds_load_2addr_b64 v[30:33], v11 offset1:1
	ds_load_b64 v[8:9], v11 offset:16
	ds_load_b64 v[34:35], v13 offset:16
	s_wait_dscnt 0x2
	v_fma_f64 v[26:27], v[30:31], v[26:27], 0
	s_delay_alu instid0(VALU_DEP_1) | instskip(SKIP_1) | instid1(VALU_DEP_1)
	v_fmac_f64_e32 v[26:27], v[32:33], v[28:29]
	s_wait_dscnt 0x0
	v_fmac_f64_e32 v[26:27], v[8:9], v[34:35]
	ds_store_b64 v12, v[26:27]
.LBB3_21:
	s_or_b32 exec_lo, exec_lo, s1
	s_wait_dscnt 0x0
	s_barrier_signal -1
	s_barrier_wait -1
	s_and_saveexec_b32 s1, s3
	s_cbranch_execz .LBB3_23
; %bb.22:
	ds_load_2addr_b64 v[26:29], v17 offset1:4
	ds_load_2addr_b64 v[30:33], v14 offset1:1
	ds_load_b64 v[8:9], v17 offset:64
	s_wait_dscnt 0x1
	v_fma_f64 v[26:27], v[26:27], v[30:31], 0
	s_delay_alu instid0(VALU_DEP_1)
	v_fmac_f64_e32 v[26:27], v[28:29], v[32:33]
	ds_load_b64 v[28:29], v14 offset:16
	s_wait_dscnt 0x0
	v_fmac_f64_e32 v[26:27], v[8:9], v[28:29]
	ds_store_b64 v16, v[26:27]
.LBB3_23:
	s_or_b32 exec_lo, exec_lo, s1
	s_wait_dscnt 0x0
	s_barrier_signal -1
	s_barrier_wait -1
	s_and_saveexec_b32 s1, vcc_lo
	s_cbranch_execz .LBB3_25
; %bb.24:
	global_load_b64 v[8:9], v[2:3], off
	ds_load_2addr_b64 v[26:29], v19 offset1:16
	ds_load_2addr_b64 v[30:33], v21 offset1:1
	ds_load_b64 v[34:35], v19 offset:256
	s_wait_dscnt 0x1
	v_fma_f64 v[26:27], v[26:27], v[30:31], 0
	s_delay_alu instid0(VALU_DEP_1) | instskip(SKIP_4) | instid1(VALU_DEP_1)
	v_fmac_f64_e32 v[26:27], v[28:29], v[32:33]
	ds_load_b64 v[28:29], v21 offset:16
	s_wait_dscnt 0x0
	v_fmac_f64_e32 v[26:27], v[34:35], v[28:29]
	s_wait_loadcnt 0x0
	v_mul_f64_e32 v[8:9], v[8:9], v[26:27]
	ds_store_b64 v20, v[8:9]
.LBB3_25:
	s_or_b32 exec_lo, exec_lo, s1
	s_wait_dscnt 0x0
	s_barrier_signal -1
	s_barrier_wait -1
	s_and_saveexec_b32 s1, s6
	s_cbranch_execz .LBB3_27
; %bb.26:
	ds_load_b128 v[26:29], v22
	ds_load_b128 v[30:33], v18
	ds_load_b128 v[34:37], v18 offset:16
	ds_load_b128 v[38:41], v22 offset:16
	s_wait_dscnt 0x2
	v_fma_f64 v[8:9], v[30:31], v[26:27], 0
	s_delay_alu instid0(VALU_DEP_1) | instskip(SKIP_1) | instid1(VALU_DEP_1)
	v_fmac_f64_e32 v[8:9], v[32:33], v[28:29]
	s_wait_dscnt 0x0
	v_fmac_f64_e32 v[8:9], v[34:35], v[38:39]
	s_delay_alu instid0(VALU_DEP_1)
	v_fmac_f64_e32 v[8:9], v[36:37], v[40:41]
	ds_store_b64 v10, v[8:9]
.LBB3_27:
	s_or_b32 exec_lo, exec_lo, s1
	s_wait_dscnt 0x0
	s_barrier_signal -1
	s_barrier_wait -1
	s_and_saveexec_b32 s1, s0
	s_cbranch_execz .LBB3_29
; %bb.28:
	ds_load_2addr_b64 v[26:29], v24 offset1:3
	ds_load_b128 v[30:33], v25
	ds_load_b128 v[34:37], v25 offset:16
	s_wait_dscnt 0x1
	v_fma_f64 v[8:9], v[26:27], v[30:31], 0
	s_delay_alu instid0(VALU_DEP_1) | instskip(SKIP_3) | instid1(VALU_DEP_1)
	v_fmac_f64_e32 v[8:9], v[28:29], v[32:33]
	ds_load_2addr_b64 v[26:29], v24 offset0:6 offset1:9
	s_wait_dscnt 0x0
	v_fmac_f64_e32 v[8:9], v[26:27], v[34:35]
	v_fmac_f64_e32 v[8:9], v[28:29], v[36:37]
	ds_store_b64 v23, v[8:9]
.LBB3_29:
	s_or_b32 exec_lo, exec_lo, s1
	s_wait_dscnt 0x0
	s_barrier_signal -1
	s_barrier_wait -1
	s_and_saveexec_b32 s1, s12
	s_cbranch_execz .LBB3_31
; %bb.30:
	ds_load_2addr_b64 v[26:29], v6 offset1:9
	ds_load_b128 v[30:33], v7
	ds_load_b128 v[34:37], v7 offset:16
	s_wait_dscnt 0x1
	v_fma_f64 v[8:9], v[26:27], v[30:31], 0
	s_delay_alu instid0(VALU_DEP_1) | instskip(SKIP_3) | instid1(VALU_DEP_1)
	v_fmac_f64_e32 v[8:9], v[28:29], v[32:33]
	ds_load_2addr_b64 v[26:29], v6 offset0:18 offset1:27
	s_wait_dscnt 0x0
	v_fmac_f64_e32 v[8:9], v[26:27], v[34:35]
	v_fmac_f64_e32 v[8:9], v[28:29], v[36:37]
	global_store_b64 v[4:5], v[8:9], off offset:216
.LBB3_31:
	s_wait_xcnt 0x0
	s_or_b32 exec_lo, exec_lo, s1
	s_wait_storecnt 0x0
	s_barrier_signal -1
	s_barrier_wait -1
	s_and_saveexec_b32 s1, s12
	s_cbranch_execz .LBB3_33
; %bb.32:
	global_load_b64 v[0:1], v[0:1], off offset:432
	s_wait_loadcnt 0x0
	ds_store_b64 v15, v[0:1]
.LBB3_33:
	s_or_b32 exec_lo, exec_lo, s1
	s_wait_dscnt 0x0
	s_barrier_signal -1
	s_barrier_wait -1
	s_and_saveexec_b32 s1, s13
	s_cbranch_execz .LBB3_35
; %bb.34:
	ds_load_2addr_b64 v[26:29], v13 offset1:1
	ds_load_2addr_b64 v[30:33], v11 offset1:1
	ds_load_b64 v[0:1], v11 offset:16
	ds_load_b64 v[8:9], v13 offset:16
	s_wait_dscnt 0x2
	v_fma_f64 v[26:27], v[30:31], v[26:27], 0
	s_delay_alu instid0(VALU_DEP_1) | instskip(SKIP_1) | instid1(VALU_DEP_1)
	v_fmac_f64_e32 v[26:27], v[32:33], v[28:29]
	s_wait_dscnt 0x0
	v_fmac_f64_e32 v[26:27], v[0:1], v[8:9]
	ds_store_b64 v12, v[26:27]
.LBB3_35:
	s_or_b32 exec_lo, exec_lo, s1
	s_wait_dscnt 0x0
	s_barrier_signal -1
	s_barrier_wait -1
	s_and_saveexec_b32 s1, s3
	s_cbranch_execz .LBB3_37
; %bb.36:
	ds_load_2addr_b64 v[26:29], v17 offset1:4
	ds_load_2addr_b64 v[30:33], v14 offset1:1
	ds_load_b64 v[0:1], v17 offset:64
	ds_load_b64 v[12:13], v14 offset:16
	s_wait_dscnt 0x2
	v_fma_f64 v[8:9], v[26:27], v[30:31], 0
	s_delay_alu instid0(VALU_DEP_1) | instskip(SKIP_1) | instid1(VALU_DEP_1)
	v_fmac_f64_e32 v[8:9], v[28:29], v[32:33]
	s_wait_dscnt 0x0
	v_fmac_f64_e32 v[8:9], v[0:1], v[12:13]
	ds_store_b64 v16, v[8:9]
.LBB3_37:
	s_or_b32 exec_lo, exec_lo, s1
	s_wait_dscnt 0x0
	s_barrier_signal -1
	s_barrier_wait -1
	s_and_saveexec_b32 s1, vcc_lo
	s_cbranch_execz .LBB3_39
; %bb.38:
	global_load_b64 v[8:9], v[2:3], off
	s_wait_xcnt 0x0
	ds_load_2addr_b64 v[0:3], v19 offset1:16
	ds_load_2addr_b64 v[12:15], v21 offset1:1
	ds_load_b64 v[16:17], v19 offset:256
	s_wait_dscnt 0x1
	v_fma_f64 v[0:1], v[0:1], v[12:13], 0
	s_delay_alu instid0(VALU_DEP_1) | instskip(SKIP_4) | instid1(VALU_DEP_1)
	v_fmac_f64_e32 v[0:1], v[2:3], v[14:15]
	ds_load_b64 v[2:3], v21 offset:16
	s_wait_dscnt 0x0
	v_fmac_f64_e32 v[0:1], v[16:17], v[2:3]
	s_wait_loadcnt 0x0
	v_mul_f64_e32 v[0:1], v[8:9], v[0:1]
	ds_store_b64 v20, v[0:1]
.LBB3_39:
	s_or_b32 exec_lo, exec_lo, s1
	s_wait_dscnt 0x0
	s_barrier_signal -1
	s_barrier_wait -1
	s_and_saveexec_b32 s1, s6
	s_cbranch_execz .LBB3_41
; %bb.40:
	ds_load_b128 v[0:3], v22
	ds_load_b128 v[12:15], v18
	ds_load_b128 v[16:19], v18 offset:16
	ds_load_b128 v[26:29], v22 offset:16
	s_wait_dscnt 0x2
	v_fma_f64 v[0:1], v[12:13], v[0:1], 0
	s_delay_alu instid0(VALU_DEP_1) | instskip(SKIP_1) | instid1(VALU_DEP_1)
	v_fmac_f64_e32 v[0:1], v[14:15], v[2:3]
	s_wait_dscnt 0x0
	v_fmac_f64_e32 v[0:1], v[16:17], v[26:27]
	s_delay_alu instid0(VALU_DEP_1)
	v_fmac_f64_e32 v[0:1], v[18:19], v[28:29]
	ds_store_b64 v10, v[0:1]
.LBB3_41:
	s_or_b32 exec_lo, exec_lo, s1
	s_wait_dscnt 0x0
	s_barrier_signal -1
	s_barrier_wait -1
	s_and_saveexec_b32 s1, s0
	s_cbranch_execz .LBB3_43
; %bb.42:
	ds_load_2addr_b64 v[0:3], v24 offset1:3
	ds_load_b128 v[8:11], v25
	ds_load_b128 v[12:15], v25 offset:16
	s_wait_dscnt 0x1
	v_fma_f64 v[8:9], v[0:1], v[8:9], 0
	s_delay_alu instid0(VALU_DEP_1) | instskip(SKIP_3) | instid1(VALU_DEP_1)
	v_fmac_f64_e32 v[8:9], v[2:3], v[10:11]
	ds_load_2addr_b64 v[0:3], v24 offset0:6 offset1:9
	s_wait_dscnt 0x0
	v_fmac_f64_e32 v[8:9], v[0:1], v[12:13]
	v_fmac_f64_e32 v[8:9], v[2:3], v[14:15]
	ds_store_b64 v23, v[8:9]
.LBB3_43:
	s_or_b32 exec_lo, exec_lo, s1
	s_wait_dscnt 0x0
	s_barrier_signal -1
	s_barrier_wait -1
	s_and_saveexec_b32 s0, s12
	s_cbranch_execz .LBB3_45
; %bb.44:
	ds_load_2addr_b64 v[0:3], v6 offset1:9
	ds_load_b128 v[8:11], v7
	ds_load_b128 v[12:15], v7 offset:16
	s_wait_dscnt 0x1
	v_fma_f64 v[8:9], v[0:1], v[8:9], 0
	s_delay_alu instid0(VALU_DEP_1) | instskip(SKIP_3) | instid1(VALU_DEP_1)
	v_fmac_f64_e32 v[8:9], v[2:3], v[10:11]
	ds_load_2addr_b64 v[0:3], v6 offset0:18 offset1:27
	s_wait_dscnt 0x0
	v_fmac_f64_e32 v[8:9], v[0:1], v[12:13]
	v_fmac_f64_e32 v[8:9], v[2:3], v[14:15]
	global_store_b64 v[4:5], v[8:9], off offset:432
.LBB3_45:
	s_wait_xcnt 0x0
	s_or_b32 exec_lo, exec_lo, s0
	s_wait_storecnt 0x0
	s_barrier_signal -1
	s_barrier_wait -1
.LBB3_46:
	s_endpgm
	.section	.rodata,"a",@progbits
	.p2align	6, 0x0
	.amdhsa_kernel _ZN4RAJA34launch_new_reduce_global_fcn_fixedIZN8rajaperf4apps11MASSVEC3DPA17runHipVariantImplILm64ELm1EEEvNS1_9VariantIDEEUlNS_14LaunchContextTINS_3hip33LaunchContextIndicesAndDimsPolicyINS7_14IndicesAndDimsILb0ELb0ELb0ELb0EEEEEEEE_Li64ENS_4expt15ForallParamPackIJEEEEEvT_T1_
		.amdhsa_group_segment_fixed_size 1216
		.amdhsa_private_segment_fixed_size 0
		.amdhsa_kernarg_size 44
		.amdhsa_user_sgpr_count 2
		.amdhsa_user_sgpr_dispatch_ptr 0
		.amdhsa_user_sgpr_queue_ptr 0
		.amdhsa_user_sgpr_kernarg_segment_ptr 1
		.amdhsa_user_sgpr_dispatch_id 0
		.amdhsa_user_sgpr_kernarg_preload_length 0
		.amdhsa_user_sgpr_kernarg_preload_offset 0
		.amdhsa_user_sgpr_private_segment_size 0
		.amdhsa_wavefront_size32 1
		.amdhsa_uses_dynamic_stack 0
		.amdhsa_enable_private_segment 0
		.amdhsa_system_sgpr_workgroup_id_x 1
		.amdhsa_system_sgpr_workgroup_id_y 0
		.amdhsa_system_sgpr_workgroup_id_z 0
		.amdhsa_system_sgpr_workgroup_info 0
		.amdhsa_system_vgpr_workitem_id 2
		.amdhsa_next_free_vgpr 44
		.amdhsa_next_free_sgpr 14
		.amdhsa_named_barrier_count 0
		.amdhsa_reserve_vcc 1
		.amdhsa_float_round_mode_32 0
		.amdhsa_float_round_mode_16_64 0
		.amdhsa_float_denorm_mode_32 3
		.amdhsa_float_denorm_mode_16_64 3
		.amdhsa_fp16_overflow 0
		.amdhsa_memory_ordered 1
		.amdhsa_forward_progress 1
		.amdhsa_inst_pref_size 21
		.amdhsa_round_robin_scheduling 0
		.amdhsa_exception_fp_ieee_invalid_op 0
		.amdhsa_exception_fp_denorm_src 0
		.amdhsa_exception_fp_ieee_div_zero 0
		.amdhsa_exception_fp_ieee_overflow 0
		.amdhsa_exception_fp_ieee_underflow 0
		.amdhsa_exception_fp_ieee_inexact 0
		.amdhsa_exception_int_div_zero 0
	.end_amdhsa_kernel
	.section	.text._ZN4RAJA34launch_new_reduce_global_fcn_fixedIZN8rajaperf4apps11MASSVEC3DPA17runHipVariantImplILm64ELm1EEEvNS1_9VariantIDEEUlNS_14LaunchContextTINS_3hip33LaunchContextIndicesAndDimsPolicyINS7_14IndicesAndDimsILb0ELb0ELb0ELb0EEEEEEEE_Li64ENS_4expt15ForallParamPackIJEEEEEvT_T1_,"axG",@progbits,_ZN4RAJA34launch_new_reduce_global_fcn_fixedIZN8rajaperf4apps11MASSVEC3DPA17runHipVariantImplILm64ELm1EEEvNS1_9VariantIDEEUlNS_14LaunchContextTINS_3hip33LaunchContextIndicesAndDimsPolicyINS7_14IndicesAndDimsILb0ELb0ELb0ELb0EEEEEEEE_Li64ENS_4expt15ForallParamPackIJEEEEEvT_T1_,comdat
.Lfunc_end3:
	.size	_ZN4RAJA34launch_new_reduce_global_fcn_fixedIZN8rajaperf4apps11MASSVEC3DPA17runHipVariantImplILm64ELm1EEEvNS1_9VariantIDEEUlNS_14LaunchContextTINS_3hip33LaunchContextIndicesAndDimsPolicyINS7_14IndicesAndDimsILb0ELb0ELb0ELb0EEEEEEEE_Li64ENS_4expt15ForallParamPackIJEEEEEvT_T1_, .Lfunc_end3-_ZN4RAJA34launch_new_reduce_global_fcn_fixedIZN8rajaperf4apps11MASSVEC3DPA17runHipVariantImplILm64ELm1EEEvNS1_9VariantIDEEUlNS_14LaunchContextTINS_3hip33LaunchContextIndicesAndDimsPolicyINS7_14IndicesAndDimsILb0ELb0ELb0ELb0EEEEEEEE_Li64ENS_4expt15ForallParamPackIJEEEEEvT_T1_
                                        ; -- End function
	.set _ZN4RAJA34launch_new_reduce_global_fcn_fixedIZN8rajaperf4apps11MASSVEC3DPA17runHipVariantImplILm64ELm1EEEvNS1_9VariantIDEEUlNS_14LaunchContextTINS_3hip33LaunchContextIndicesAndDimsPolicyINS7_14IndicesAndDimsILb0ELb0ELb0ELb0EEEEEEEE_Li64ENS_4expt15ForallParamPackIJEEEEEvT_T1_.num_vgpr, 44
	.set _ZN4RAJA34launch_new_reduce_global_fcn_fixedIZN8rajaperf4apps11MASSVEC3DPA17runHipVariantImplILm64ELm1EEEvNS1_9VariantIDEEUlNS_14LaunchContextTINS_3hip33LaunchContextIndicesAndDimsPolicyINS7_14IndicesAndDimsILb0ELb0ELb0ELb0EEEEEEEE_Li64ENS_4expt15ForallParamPackIJEEEEEvT_T1_.num_agpr, 0
	.set _ZN4RAJA34launch_new_reduce_global_fcn_fixedIZN8rajaperf4apps11MASSVEC3DPA17runHipVariantImplILm64ELm1EEEvNS1_9VariantIDEEUlNS_14LaunchContextTINS_3hip33LaunchContextIndicesAndDimsPolicyINS7_14IndicesAndDimsILb0ELb0ELb0ELb0EEEEEEEE_Li64ENS_4expt15ForallParamPackIJEEEEEvT_T1_.numbered_sgpr, 14
	.set _ZN4RAJA34launch_new_reduce_global_fcn_fixedIZN8rajaperf4apps11MASSVEC3DPA17runHipVariantImplILm64ELm1EEEvNS1_9VariantIDEEUlNS_14LaunchContextTINS_3hip33LaunchContextIndicesAndDimsPolicyINS7_14IndicesAndDimsILb0ELb0ELb0ELb0EEEEEEEE_Li64ENS_4expt15ForallParamPackIJEEEEEvT_T1_.num_named_barrier, 0
	.set _ZN4RAJA34launch_new_reduce_global_fcn_fixedIZN8rajaperf4apps11MASSVEC3DPA17runHipVariantImplILm64ELm1EEEvNS1_9VariantIDEEUlNS_14LaunchContextTINS_3hip33LaunchContextIndicesAndDimsPolicyINS7_14IndicesAndDimsILb0ELb0ELb0ELb0EEEEEEEE_Li64ENS_4expt15ForallParamPackIJEEEEEvT_T1_.private_seg_size, 0
	.set _ZN4RAJA34launch_new_reduce_global_fcn_fixedIZN8rajaperf4apps11MASSVEC3DPA17runHipVariantImplILm64ELm1EEEvNS1_9VariantIDEEUlNS_14LaunchContextTINS_3hip33LaunchContextIndicesAndDimsPolicyINS7_14IndicesAndDimsILb0ELb0ELb0ELb0EEEEEEEE_Li64ENS_4expt15ForallParamPackIJEEEEEvT_T1_.uses_vcc, 1
	.set _ZN4RAJA34launch_new_reduce_global_fcn_fixedIZN8rajaperf4apps11MASSVEC3DPA17runHipVariantImplILm64ELm1EEEvNS1_9VariantIDEEUlNS_14LaunchContextTINS_3hip33LaunchContextIndicesAndDimsPolicyINS7_14IndicesAndDimsILb0ELb0ELb0ELb0EEEEEEEE_Li64ENS_4expt15ForallParamPackIJEEEEEvT_T1_.uses_flat_scratch, 0
	.set _ZN4RAJA34launch_new_reduce_global_fcn_fixedIZN8rajaperf4apps11MASSVEC3DPA17runHipVariantImplILm64ELm1EEEvNS1_9VariantIDEEUlNS_14LaunchContextTINS_3hip33LaunchContextIndicesAndDimsPolicyINS7_14IndicesAndDimsILb0ELb0ELb0ELb0EEEEEEEE_Li64ENS_4expt15ForallParamPackIJEEEEEvT_T1_.has_dyn_sized_stack, 0
	.set _ZN4RAJA34launch_new_reduce_global_fcn_fixedIZN8rajaperf4apps11MASSVEC3DPA17runHipVariantImplILm64ELm1EEEvNS1_9VariantIDEEUlNS_14LaunchContextTINS_3hip33LaunchContextIndicesAndDimsPolicyINS7_14IndicesAndDimsILb0ELb0ELb0ELb0EEEEEEEE_Li64ENS_4expt15ForallParamPackIJEEEEEvT_T1_.has_recursion, 0
	.set _ZN4RAJA34launch_new_reduce_global_fcn_fixedIZN8rajaperf4apps11MASSVEC3DPA17runHipVariantImplILm64ELm1EEEvNS1_9VariantIDEEUlNS_14LaunchContextTINS_3hip33LaunchContextIndicesAndDimsPolicyINS7_14IndicesAndDimsILb0ELb0ELb0ELb0EEEEEEEE_Li64ENS_4expt15ForallParamPackIJEEEEEvT_T1_.has_indirect_call, 0
	.section	.AMDGPU.csdata,"",@progbits
; Kernel info:
; codeLenInByte = 2676
; TotalNumSgprs: 16
; NumVgprs: 44
; ScratchSize: 0
; MemoryBound: 1
; FloatMode: 240
; IeeeMode: 1
; LDSByteSize: 1216 bytes/workgroup (compile time only)
; SGPRBlocks: 0
; VGPRBlocks: 2
; NumSGPRsForWavesPerEU: 16
; NumVGPRsForWavesPerEU: 44
; NamedBarCnt: 0
; Occupancy: 16
; WaveLimiterHint : 0
; COMPUTE_PGM_RSRC2:SCRATCH_EN: 0
; COMPUTE_PGM_RSRC2:USER_SGPR: 2
; COMPUTE_PGM_RSRC2:TRAP_HANDLER: 0
; COMPUTE_PGM_RSRC2:TGID_X_EN: 1
; COMPUTE_PGM_RSRC2:TGID_Y_EN: 0
; COMPUTE_PGM_RSRC2:TGID_Z_EN: 0
; COMPUTE_PGM_RSRC2:TIDIG_COMP_CNT: 2
	.section	.text._ZN4RAJA34launch_new_reduce_global_fcn_fixedIZN8rajaperf4apps11MASSVEC3DPA17runHipVariantImplILm64ELm2EEEvNS1_9VariantIDEEUlNS_14LaunchContextTINS_3hip33LaunchContextIndicesAndDimsPolicyINS7_14IndicesAndDimsILb0ELb0ELb1ELb0EEEEEEEE_Li64ENS_4expt15ForallParamPackIJEEEEEvT_T1_,"axG",@progbits,_ZN4RAJA34launch_new_reduce_global_fcn_fixedIZN8rajaperf4apps11MASSVEC3DPA17runHipVariantImplILm64ELm2EEEvNS1_9VariantIDEEUlNS_14LaunchContextTINS_3hip33LaunchContextIndicesAndDimsPolicyINS7_14IndicesAndDimsILb0ELb0ELb1ELb0EEEEEEEE_Li64ENS_4expt15ForallParamPackIJEEEEEvT_T1_,comdat
	.protected	_ZN4RAJA34launch_new_reduce_global_fcn_fixedIZN8rajaperf4apps11MASSVEC3DPA17runHipVariantImplILm64ELm2EEEvNS1_9VariantIDEEUlNS_14LaunchContextTINS_3hip33LaunchContextIndicesAndDimsPolicyINS7_14IndicesAndDimsILb0ELb0ELb1ELb0EEEEEEEE_Li64ENS_4expt15ForallParamPackIJEEEEEvT_T1_ ; -- Begin function _ZN4RAJA34launch_new_reduce_global_fcn_fixedIZN8rajaperf4apps11MASSVEC3DPA17runHipVariantImplILm64ELm2EEEvNS1_9VariantIDEEUlNS_14LaunchContextTINS_3hip33LaunchContextIndicesAndDimsPolicyINS7_14IndicesAndDimsILb0ELb0ELb1ELb0EEEEEEEE_Li64ENS_4expt15ForallParamPackIJEEEEEvT_T1_
	.globl	_ZN4RAJA34launch_new_reduce_global_fcn_fixedIZN8rajaperf4apps11MASSVEC3DPA17runHipVariantImplILm64ELm2EEEvNS1_9VariantIDEEUlNS_14LaunchContextTINS_3hip33LaunchContextIndicesAndDimsPolicyINS7_14IndicesAndDimsILb0ELb0ELb1ELb0EEEEEEEE_Li64ENS_4expt15ForallParamPackIJEEEEEvT_T1_
	.p2align	8
	.type	_ZN4RAJA34launch_new_reduce_global_fcn_fixedIZN8rajaperf4apps11MASSVEC3DPA17runHipVariantImplILm64ELm2EEEvNS1_9VariantIDEEUlNS_14LaunchContextTINS_3hip33LaunchContextIndicesAndDimsPolicyINS7_14IndicesAndDimsILb0ELb0ELb1ELb0EEEEEEEE_Li64ENS_4expt15ForallParamPackIJEEEEEvT_T1_,@function
_ZN4RAJA34launch_new_reduce_global_fcn_fixedIZN8rajaperf4apps11MASSVEC3DPA17runHipVariantImplILm64ELm2EEEvNS1_9VariantIDEEUlNS_14LaunchContextTINS_3hip33LaunchContextIndicesAndDimsPolicyINS7_14IndicesAndDimsILb0ELb0ELb1ELb0EEEEEEEE_Li64ENS_4expt15ForallParamPackIJEEEEEvT_T1_: ; @_ZN4RAJA34launch_new_reduce_global_fcn_fixedIZN8rajaperf4apps11MASSVEC3DPA17runHipVariantImplILm64ELm2EEEvNS1_9VariantIDEEUlNS_14LaunchContextTINS_3hip33LaunchContextIndicesAndDimsPolicyINS7_14IndicesAndDimsILb0ELb0ELb1ELb0EEEEEEEE_Li64ENS_4expt15ForallParamPackIJEEEEEvT_T1_
; %bb.0:
	s_load_b256 s[4:11], s[0:1], 0x0
	s_bfe_u32 s2, ttmp6, 0x4000c
	s_and_b32 s3, ttmp6, 15
	s_add_co_i32 s2, s2, 1
	s_getreg_b32 s12, hwreg(HW_REG_IB_STS2, 6, 4)
	s_mul_i32 s2, ttmp9, s2
	s_mov_b32 s17, 0
	s_add_co_i32 s3, s3, s2
	s_cmp_eq_u32 s12, 0
	s_cselect_b32 s16, ttmp9, s3
	s_wait_kmcnt 0x0
	v_cmp_le_i64_e64 s2, s[4:5], s[16:17]
	s_and_b32 vcc_lo, exec_lo, s2
	s_cbranch_vccnz .LBB4_78
; %bb.1:
	s_clause 0x1
	s_load_b64 s[12:13], s[0:1], 0x3c
	s_load_b64 s[14:15], s[0:1], 0x20
	v_bfe_u32 v10, v0, 10, 10
	v_bfe_u32 v8, v0, 20, 10
	v_and_b32_e32 v12, 0x3ff, v0
	s_wait_xcnt 0x0
	s_mov_b32 s0, exec_lo
                                        ; implicit-def: $vgpr14_vgpr15
                                        ; implicit-def: $vgpr16_vgpr17
                                        ; implicit-def: $vgpr4_vgpr5
                                        ; implicit-def: $vgpr18_vgpr19
                                        ; implicit-def: $vgpr20_vgpr21
	v_lshlrev_b32_e32 v2, 5, v10
	s_wait_kmcnt 0x0
	s_lshr_b32 s2, s12, 16
	s_and_b32 s4, s12, 0xffff
	v_cmpx_ne_u32_e32 0, v8
	s_xor_b32 s0, exec_lo, s0
	s_cbranch_execz .LBB4_3
; %bb.2:
	s_mov_b32 s3, 0
	v_and_b32_e32 v12, 0x3ff, v0
	v_mov_b32_e32 v11, 0
	s_mov_b32 s5, s3
	s_lshl_b32 s18, s4, 3
	s_mov_b32 s19, s3
	s_lshl_b32 s20, s2, 5
	s_mov_b32 s21, s3
	v_mov_b64_e32 v[18:19], s[18:19]
	v_mov_b64_e32 v[20:21], s[20:21]
	;; [unrolled: 1-line block ×4, first 2 shown]
	v_dual_mov_b32 v13, v11 :: v_dual_lshlrev_b32 v4, 3, v12
	v_dual_mov_b32 v5, v11 :: v_dual_mov_b32 v3, v11
.LBB4_3:
	s_or_saveexec_b32 s22, s0
	s_and_b32 s12, s13, 0xffff
	s_xor_b32 exec_lo, exec_lo, s22
	s_cbranch_execz .LBB4_13
; %bb.4:
	v_dual_mov_b32 v11, 0 :: v_dual_lshlrev_b32 v4, 3, v12
	v_mul_u32_u24_e32 v6, 24, v12
	v_lshlrev_b32_e32 v7, 3, v10
	v_cmp_gt_u32_e64 s0, 3, v10
	s_delay_alu instid0(VALU_DEP_4)
	v_dual_mov_b32 v3, v11 :: v_dual_mov_b32 v5, v11
	v_cmp_gt_u32_e64 s1, 4, v12
	v_mov_b32_e32 v13, v11
	v_add3_u32 v9, v2, v4, 0x460
	v_add3_u32 v20, v6, v7, 0x400
	v_add_nc_u64_e32 v[0:1], v[2:3], v[4:5]
	s_mov_b32 s3, 0
	s_cmp_lg_u32 s12, 0
	s_mov_b32 s5, s3
	s_cselect_b32 s13, -1, 0
	s_lshl_b32 s18, s2, 5
	s_mov_b32 s19, s3
	v_add_nc_u64_e32 v[0:1], s[6:7], v[0:1]
	s_lshl_b32 s20, s4, 3
	s_mov_b32 s21, s3
	s_lshl_b32 s6, s2, 3
	s_mul_i32 s7, s4, 24
	s_branch .LBB4_6
.LBB4_5:                                ;   in Loop: Header=BB4_6 Depth=1
	s_or_b32 exec_lo, exec_lo, s23
	s_delay_alu instid0(SALU_CYCLE_1)
	s_and_not1_b32 vcc_lo, exec_lo, s13
	s_cbranch_vccz .LBB4_12
.LBB4_6:                                ; =>This Loop Header: Depth=1
                                        ;     Child Loop BB4_9 Depth 2
                                        ;       Child Loop BB4_11 Depth 3
	s_and_saveexec_b32 s23, s0
	s_cbranch_execz .LBB4_5
; %bb.7:                                ;   in Loop: Header=BB4_6 Depth=1
	v_mov_b64_e32 v[6:7], v[0:1]
	v_mov_b64_e32 v[14:15], v[10:11]
	v_dual_mov_b32 v21, v20 :: v_dual_mov_b32 v22, v9
	s_mov_b32 s24, 0
	s_branch .LBB4_9
.LBB4_8:                                ;   in Loop: Header=BB4_9 Depth=2
	s_or_b32 exec_lo, exec_lo, s25
	v_add_nc_u64_e32 v[14:15], s[2:3], v[14:15]
	v_add_nc_u64_e32 v[6:7], s[18:19], v[6:7]
	v_dual_add_nc_u32 v22, s18, v22 :: v_dual_add_nc_u32 v21, s6, v21
	s_delay_alu instid0(VALU_DEP_3) | instskip(SKIP_1) | instid1(SALU_CYCLE_1)
	v_cmp_lt_u64_e32 vcc_lo, 2, v[14:15]
	s_or_b32 s24, vcc_lo, s24
	s_and_not1_b32 exec_lo, exec_lo, s24
	s_cbranch_execz .LBB4_5
.LBB4_9:                                ;   Parent Loop BB4_6 Depth=1
                                        ; =>  This Loop Header: Depth=2
                                        ;       Child Loop BB4_11 Depth 3
	s_and_saveexec_b32 s25, s1
	s_cbranch_execz .LBB4_8
; %bb.10:                               ;   in Loop: Header=BB4_9 Depth=2
	v_mov_b64_e32 v[16:17], v[6:7]
	v_mov_b64_e32 v[18:19], v[12:13]
	v_dual_mov_b32 v23, v21 :: v_dual_mov_b32 v24, v22
	s_mov_b32 s26, 0
.LBB4_11:                               ;   Parent Loop BB4_6 Depth=1
                                        ;     Parent Loop BB4_9 Depth=2
                                        ; =>    This Inner Loop Header: Depth=3
	global_load_b64 v[26:27], v[16:17], off
	v_add_nc_u64_e32 v[18:19], s[4:5], v[18:19]
	s_wait_xcnt 0x0
	v_add_nc_u64_e32 v[16:17], s[20:21], v[16:17]
	s_wait_loadcnt 0x0
	ds_store_b64 v23, v[26:27]
	ds_store_b64 v24, v[26:27]
	v_cmp_lt_u64_e32 vcc_lo, 3, v[18:19]
	v_dual_add_nc_u32 v24, s20, v24 :: v_dual_add_nc_u32 v23, s7, v23
	s_or_b32 s26, vcc_lo, s26
	s_delay_alu instid0(SALU_CYCLE_1)
	s_and_not1_b32 exec_lo, exec_lo, s26
	s_cbranch_execnz .LBB4_11
	s_branch .LBB4_8
.LBB4_12:
	v_mov_b64_e32 v[14:15], s[2:3]
	v_mov_b64_e32 v[16:17], s[4:5]
	;; [unrolled: 1-line block ×4, first 2 shown]
.LBB4_13:
	s_or_b32 exec_lo, exec_lo, s22
	v_mul_hi_u32_u24_e32 v1, 0x48, v8
	v_mul_u32_u24_e32 v0, 0x48, v8
	v_dual_mov_b32 v9, 0 :: v_dual_lshlrev_b32 v6, 7, v8
	v_mul_u64_e32 v[22:23], 24, v[14:15]
	s_lshl_b64 s[4:5], s[16:17], 9
	s_delay_alu instid0(VALU_DEP_3) | instskip(NEXT) | instid1(VALU_DEP_3)
	v_mad_nc_u64_u32 v[0:1], 0x288, s16, v[0:1]
	v_dual_mov_b32 v7, v9 :: v_dual_lshlrev_b32 v26, 3, v12
	v_dual_lshlrev_b32 v27, 5, v10 :: v_dual_lshlrev_b32 v43, 3, v16
	v_mul_lo_u32 v42, v14, 24
	s_delay_alu instid0(VALU_DEP_3)
	v_add_nc_u64_e32 v[24:25], s[4:5], v[6:7]
	v_mul_lo_u32 v7, v10, 24
	v_mad_u32_u24 v46, 0x60, v8, v26
	v_add_nc_u32_e32 v45, v27, v26
	v_cmp_gt_u32_e64 s0, 4, v8
	v_mad_nc_u64_u32 v[0:1], v10, 24, v[0:1]
	v_cmp_gt_u32_e64 s1, 3, v10
	v_add_nc_u64_e32 v[2:3], v[24:25], v[2:3]
	v_add3_u32 v48, v46, v27, 0x200
	v_cmp_gt_u32_e64 s2, 3, v12
	v_cmp_gt_u32_e64 s3, 4, v12
	;; [unrolled: 1-line block ×3, first 2 shown]
	v_dual_lshlrev_b32 v44, 5, v14 :: v_dual_add_nc_u32 v49, v46, v7
	v_add_nc_u64_e32 v[2:3], v[2:3], v[4:5]
	v_add_nc_u32_e32 v47, v45, v6
	v_mad_u32 v1, v11, 24, v1
	s_mov_b32 s13, 0
	s_mul_i32 s16, s12, 0x48
	s_mul_i32 s17, s12, 0x60
	s_mul_u64 s[6:7], s[12:13], 0x48
	v_add_nc_u64_e32 v[24:25], s[10:11], v[2:3]
	s_mov_b64 s[10:11], 0
	v_cmp_gt_u32_e32 vcc_lo, 3, v8
	s_delay_alu instid0(VALU_DEP_3) | instskip(SKIP_1) | instid1(VALU_DEP_1)
	v_add_nc_u64_e32 v[0:1], v[0:1], v[4:5]
	v_add_nc_u32_e32 v4, v7, v26
	v_mad_u32_u24 v50, 0x48, v8, v4
	s_delay_alu instid0(VALU_DEP_3)
	v_add_nc_u64_e32 v[26:27], s[8:9], v[0:1]
	v_add_nc_u64_e32 v[28:29], s[14:15], v[0:1]
	v_add_nc_u32_e32 v51, 0x200, v4
	s_lshl_b32 s8, s12, 7
	s_mov_b32 s9, s13
	s_branch .LBB4_15
.LBB4_14:                               ;   in Loop: Header=BB4_15 Depth=1
	s_or_b32 exec_lo, exec_lo, s14
	v_add_nc_u64_e32 v[26:27], 0xd8, v[26:27]
	v_add_nc_u64_e32 v[28:29], 0xd8, v[28:29]
	s_add_nc_u64 s[10:11], s[10:11], 1
	s_wait_storecnt 0x0
	s_cmp_lg_u64 s[10:11], 3
	s_barrier_signal -1
	s_barrier_wait -1
	s_cbranch_scc0 .LBB4_78
.LBB4_15:                               ; =>This Loop Header: Depth=1
                                        ;     Child Loop BB4_18 Depth 2
                                        ;       Child Loop BB4_21 Depth 3
                                        ;         Child Loop BB4_23 Depth 4
                                        ;     Child Loop BB4_27 Depth 2
                                        ;       Child Loop BB4_30 Depth 3
                                        ;         Child Loop BB4_32 Depth 4
	;; [unrolled: 3-line block ×7, first 2 shown]
	s_and_saveexec_b32 s14, vcc_lo
	s_cbranch_execz .LBB4_24
; %bb.16:                               ;   in Loop: Header=BB4_15 Depth=1
	v_mov_b64_e32 v[0:1], v[26:27]
	v_mov_b64_e32 v[2:3], v[8:9]
	v_mov_b32_e32 v34, v50
	s_mov_b32 s15, 0
	s_branch .LBB4_18
.LBB4_17:                               ;   in Loop: Header=BB4_18 Depth=2
	s_or_b32 exec_lo, exec_lo, s18
	v_add_nc_u64_e32 v[2:3], s[12:13], v[2:3]
	v_add_nc_u64_e32 v[0:1], s[6:7], v[0:1]
	v_add_nc_u32_e32 v34, s16, v34
	s_delay_alu instid0(VALU_DEP_3) | instskip(SKIP_1) | instid1(SALU_CYCLE_1)
	v_cmp_lt_u64_e64 s5, 2, v[2:3]
	s_or_b32 s15, s5, s15
	s_and_not1_b32 exec_lo, exec_lo, s15
	s_cbranch_execz .LBB4_24
.LBB4_18:                               ;   Parent Loop BB4_15 Depth=1
                                        ; =>  This Loop Header: Depth=2
                                        ;       Child Loop BB4_21 Depth 3
                                        ;         Child Loop BB4_23 Depth 4
	s_and_saveexec_b32 s18, s1
	s_cbranch_execz .LBB4_17
; %bb.19:                               ;   in Loop: Header=BB4_18 Depth=2
	v_mov_b64_e32 v[4:5], v[0:1]
	v_mov_b64_e32 v[6:7], v[10:11]
	v_mov_b32_e32 v35, v34
	s_mov_b32 s19, 0
	s_branch .LBB4_21
.LBB4_20:                               ;   in Loop: Header=BB4_21 Depth=3
	s_or_b32 exec_lo, exec_lo, s20
	v_add_nc_u64_e32 v[6:7], v[6:7], v[14:15]
	v_add_nc_u64_e32 v[4:5], v[4:5], v[22:23]
	v_add_nc_u32_e32 v35, v35, v42
	s_delay_alu instid0(VALU_DEP_3) | instskip(SKIP_1) | instid1(SALU_CYCLE_1)
	v_cmp_lt_u64_e64 s5, 2, v[6:7]
	s_or_b32 s19, s5, s19
	s_and_not1_b32 exec_lo, exec_lo, s19
	s_cbranch_execz .LBB4_17
.LBB4_21:                               ;   Parent Loop BB4_15 Depth=1
                                        ;     Parent Loop BB4_18 Depth=2
                                        ; =>    This Loop Header: Depth=3
                                        ;         Child Loop BB4_23 Depth 4
	s_and_saveexec_b32 s20, s2
	s_cbranch_execz .LBB4_20
; %bb.22:                               ;   in Loop: Header=BB4_21 Depth=3
	v_mov_b64_e32 v[30:31], v[4:5]
	v_mov_b64_e32 v[32:33], v[12:13]
	v_mov_b32_e32 v36, v35
	s_mov_b32 s21, 0
.LBB4_23:                               ;   Parent Loop BB4_15 Depth=1
                                        ;     Parent Loop BB4_18 Depth=2
                                        ;       Parent Loop BB4_21 Depth=3
                                        ; =>      This Inner Loop Header: Depth=4
	global_load_b64 v[38:39], v[30:31], off
	v_add_nc_u64_e32 v[32:33], v[32:33], v[16:17]
	s_wait_xcnt 0x0
	v_add_nc_u64_e32 v[30:31], v[30:31], v[18:19]
	s_delay_alu instid0(VALU_DEP_2)
	v_cmp_lt_u64_e64 s5, 2, v[32:33]
	s_or_b32 s21, s5, s21
	s_wait_loadcnt 0x0
	ds_store_b64 v36, v[38:39]
	v_add_nc_u32_e32 v36, v36, v43
	s_and_not1_b32 exec_lo, exec_lo, s21
	s_cbranch_execnz .LBB4_23
	s_branch .LBB4_20
.LBB4_24:                               ;   in Loop: Header=BB4_15 Depth=1
	s_or_b32 exec_lo, exec_lo, s14
	s_wait_dscnt 0x0
	s_barrier_signal -1
	s_barrier_wait -1
	s_and_saveexec_b32 s14, vcc_lo
	s_cbranch_execz .LBB4_33
; %bb.25:                               ;   in Loop: Header=BB4_15 Depth=1
	v_mov_b64_e32 v[4:5], v[8:9]
	v_mov_b32_e32 v34, v48
	s_mov_b32 s15, 0
	s_branch .LBB4_27
.LBB4_26:                               ;   in Loop: Header=BB4_27 Depth=2
	s_or_b32 exec_lo, exec_lo, s18
	v_add_nc_u64_e32 v[4:5], s[12:13], v[4:5]
	v_add_nc_u32_e32 v34, s17, v34
	s_delay_alu instid0(VALU_DEP_2) | instskip(SKIP_1) | instid1(SALU_CYCLE_1)
	v_cmp_lt_u64_e64 s5, 2, v[4:5]
	s_or_b32 s15, s5, s15
	s_and_not1_b32 exec_lo, exec_lo, s15
	s_cbranch_execz .LBB4_33
.LBB4_27:                               ;   Parent Loop BB4_15 Depth=1
                                        ; =>  This Loop Header: Depth=2
                                        ;       Child Loop BB4_30 Depth 3
                                        ;         Child Loop BB4_32 Depth 4
	s_and_saveexec_b32 s18, s1
	s_cbranch_execz .LBB4_26
; %bb.28:                               ;   in Loop: Header=BB4_27 Depth=2
	s_delay_alu instid0(VALU_DEP_2)
	v_mul_lo_u32 v35, 0x48, v4
	v_mov_b64_e32 v[6:7], v[10:11]
	v_mov_b32_e32 v36, v34
	s_mov_b32 s19, 0
	s_branch .LBB4_30
.LBB4_29:                               ;   in Loop: Header=BB4_30 Depth=3
	s_or_b32 exec_lo, exec_lo, s20
	v_add_nc_u64_e32 v[6:7], v[6:7], v[14:15]
	v_add_nc_u32_e32 v36, v36, v44
	s_delay_alu instid0(VALU_DEP_2) | instskip(SKIP_1) | instid1(SALU_CYCLE_1)
	v_cmp_lt_u64_e64 s5, 2, v[6:7]
	s_or_b32 s19, s5, s19
	s_and_not1_b32 exec_lo, exec_lo, s19
	s_cbranch_execz .LBB4_26
.LBB4_30:                               ;   Parent Loop BB4_15 Depth=1
                                        ;     Parent Loop BB4_27 Depth=2
                                        ; =>    This Loop Header: Depth=3
                                        ;         Child Loop BB4_32 Depth 4
	s_and_saveexec_b32 s20, s3
	s_cbranch_execz .LBB4_29
; %bb.31:                               ;   in Loop: Header=BB4_30 Depth=3
	s_delay_alu instid0(VALU_DEP_2)
	v_mad_u32 v30, v6, 24, v35
	v_mad_u32 v37, v12, 24, 0x400
	v_mov_b64_e32 v[32:33], v[12:13]
	v_mov_b32_e32 v38, v36
	s_mov_b32 s21, 0
	ds_load_2addr_b64 v[0:3], v30 offset1:1
	ds_load_b64 v[30:31], v30 offset:16
.LBB4_32:                               ;   Parent Loop BB4_15 Depth=1
                                        ;     Parent Loop BB4_27 Depth=2
                                        ;       Parent Loop BB4_30 Depth=3
                                        ; =>      This Inner Loop Header: Depth=4
	ds_load_2addr_b64 v[52:55], v37 offset1:1
	ds_load_b64 v[40:41], v37 offset:16
	v_add_nc_u64_e32 v[32:33], v[32:33], v[16:17]
	v_mul_lo_u32 v39, v16, 24
	s_delay_alu instid0(VALU_DEP_2) | instskip(NEXT) | instid1(VALU_DEP_2)
	v_cmp_lt_u64_e64 s5, 3, v[32:33]
	v_add_nc_u32_e32 v37, v37, v39
	s_or_b32 s21, s5, s21
	s_wait_dscnt 0x1
	v_fma_f64 v[52:53], v[0:1], v[52:53], 0
	s_delay_alu instid0(VALU_DEP_1) | instskip(SKIP_1) | instid1(VALU_DEP_1)
	v_fmac_f64_e32 v[52:53], v[2:3], v[54:55]
	s_wait_dscnt 0x0
	v_fmac_f64_e32 v[52:53], v[30:31], v[40:41]
	ds_store_b64 v38, v[52:53]
	v_add_nc_u32_e32 v38, v38, v43
	s_and_not1_b32 exec_lo, exec_lo, s21
	s_cbranch_execnz .LBB4_32
	s_branch .LBB4_29
.LBB4_33:                               ;   in Loop: Header=BB4_15 Depth=1
	s_or_b32 exec_lo, exec_lo, s14
	s_wait_dscnt 0x0
	s_barrier_signal -1
	s_barrier_wait -1
	s_and_saveexec_b32 s14, vcc_lo
	s_cbranch_execz .LBB4_42
; %bb.34:                               ;   in Loop: Header=BB4_15 Depth=1
	v_mov_b64_e32 v[4:5], v[8:9]
	v_dual_mov_b32 v34, v47 :: v_dual_add_nc_u32 v35, 0x200, v46
	s_mov_b32 s15, 0
	s_branch .LBB4_36
.LBB4_35:                               ;   in Loop: Header=BB4_36 Depth=2
	s_or_b32 exec_lo, exec_lo, s18
	v_add_nc_u64_e32 v[4:5], s[12:13], v[4:5]
	v_dual_add_nc_u32 v34, s8, v34 :: v_dual_add_nc_u32 v35, s17, v35
	s_delay_alu instid0(VALU_DEP_2) | instskip(SKIP_1) | instid1(SALU_CYCLE_1)
	v_cmp_lt_u64_e64 s5, 2, v[4:5]
	s_or_b32 s15, s5, s15
	s_and_not1_b32 exec_lo, exec_lo, s15
	s_cbranch_execz .LBB4_42
.LBB4_36:                               ;   Parent Loop BB4_15 Depth=1
                                        ; =>  This Loop Header: Depth=2
                                        ;       Child Loop BB4_39 Depth 3
                                        ;         Child Loop BB4_41 Depth 4
	s_and_saveexec_b32 s18, s4
	s_cbranch_execz .LBB4_35
; %bb.37:                               ;   in Loop: Header=BB4_36 Depth=2
	v_mov_b64_e32 v[6:7], v[10:11]
	v_mov_b32_e32 v36, v34
	s_mov_b32 s19, 0
	s_branch .LBB4_39
.LBB4_38:                               ;   in Loop: Header=BB4_39 Depth=3
	s_or_b32 exec_lo, exec_lo, s20
	v_add_nc_u64_e32 v[6:7], v[6:7], v[14:15]
	v_add_nc_u32_e32 v36, v36, v44
	s_delay_alu instid0(VALU_DEP_2) | instskip(SKIP_1) | instid1(SALU_CYCLE_1)
	v_cmp_lt_u64_e64 s5, 3, v[6:7]
	s_or_b32 s19, s5, s19
	s_and_not1_b32 exec_lo, exec_lo, s19
	s_cbranch_execz .LBB4_35
.LBB4_39:                               ;   Parent Loop BB4_15 Depth=1
                                        ;     Parent Loop BB4_36 Depth=2
                                        ; =>    This Loop Header: Depth=3
                                        ;         Child Loop BB4_41 Depth 4
	s_and_saveexec_b32 s20, s3
	s_cbranch_execz .LBB4_38
; %bb.40:                               ;   in Loop: Header=BB4_39 Depth=3
	s_delay_alu instid0(VALU_DEP_2)
	v_mul_lo_u32 v30, v6, 24
	v_mov_b64_e32 v[32:33], v[12:13]
	v_mov_b32_e32 v37, 0
	s_mov_b32 s21, 0
	ds_load_2addr_b64 v[0:3], v30 offset0:128 offset1:129
	ds_load_b64 v[30:31], v30 offset:1040
.LBB4_41:                               ;   Parent Loop BB4_15 Depth=1
                                        ;     Parent Loop BB4_36 Depth=2
                                        ;       Parent Loop BB4_39 Depth=3
                                        ; =>      This Inner Loop Header: Depth=4
	v_add_nc_u32_e32 v52, v35, v37
	v_add_nc_u64_e32 v[32:33], v[32:33], v[16:17]
	ds_load_2addr_b64 v[38:41], v52 offset1:4
	v_cmp_lt_u64_e64 s5, 3, v[32:33]
	s_or_b32 s21, s5, s21
	s_wait_dscnt 0x0
	v_fma_f64 v[38:39], v[0:1], v[38:39], 0
	s_delay_alu instid0(VALU_DEP_1)
	v_fmac_f64_e32 v[38:39], v[2:3], v[40:41]
	ds_load_b64 v[40:41], v52 offset:64
	s_wait_dscnt 0x0
	v_fmac_f64_e32 v[38:39], v[30:31], v[40:41]
	v_dual_add_nc_u32 v40, v36, v37 :: v_dual_add_nc_u32 v37, v37, v43
	ds_store_b64 v40, v[38:39]
	s_and_not1_b32 exec_lo, exec_lo, s21
	s_cbranch_execnz .LBB4_41
	s_branch .LBB4_38
.LBB4_42:                               ;   in Loop: Header=BB4_15 Depth=1
	s_or_b32 exec_lo, exec_lo, s14
	s_wait_dscnt 0x0
	s_barrier_signal -1
	s_barrier_wait -1
	s_and_saveexec_b32 s14, s0
	s_cbranch_execz .LBB4_51
; %bb.43:                               ;   in Loop: Header=BB4_15 Depth=1
	v_mov_b64_e32 v[4:5], v[24:25]
	v_mov_b64_e32 v[6:7], v[8:9]
	v_add_nc_u32_e32 v40, 0x200, v47
	s_mov_b32 s15, 0
	s_branch .LBB4_45
.LBB4_44:                               ;   in Loop: Header=BB4_45 Depth=2
	s_or_b32 exec_lo, exec_lo, s18
	v_add_nc_u64_e32 v[6:7], s[12:13], v[6:7]
	v_add_nc_u64_e32 v[4:5], s[8:9], v[4:5]
	v_add_nc_u32_e32 v40, s8, v40
	s_delay_alu instid0(VALU_DEP_3) | instskip(SKIP_1) | instid1(SALU_CYCLE_1)
	v_cmp_lt_u64_e64 s5, 3, v[6:7]
	s_or_b32 s15, s5, s15
	s_and_not1_b32 exec_lo, exec_lo, s15
	s_cbranch_execz .LBB4_51
.LBB4_45:                               ;   Parent Loop BB4_15 Depth=1
                                        ; =>  This Loop Header: Depth=2
                                        ;       Child Loop BB4_48 Depth 3
                                        ;         Child Loop BB4_50 Depth 4
	s_and_saveexec_b32 s18, s4
	s_cbranch_execz .LBB4_44
; %bb.46:                               ;   in Loop: Header=BB4_45 Depth=2
	s_delay_alu instid0(VALU_DEP_2)
	v_mad_u32 v41, v6, 24, 0x400
	v_mov_b64_e32 v[30:31], v[4:5]
	v_mov_b64_e32 v[32:33], v[10:11]
	v_dual_mov_b32 v52, v45 :: v_dual_mov_b32 v53, v40
	s_mov_b32 s19, 0
	s_branch .LBB4_48
.LBB4_47:                               ;   in Loop: Header=BB4_48 Depth=3
	s_or_b32 exec_lo, exec_lo, s20
	v_add_nc_u64_e32 v[32:33], v[32:33], v[14:15]
	v_add_nc_u64_e32 v[30:31], v[30:31], v[20:21]
	v_dual_add_nc_u32 v53, v53, v44 :: v_dual_add_nc_u32 v52, v52, v44
	s_delay_alu instid0(VALU_DEP_3) | instskip(SKIP_1) | instid1(SALU_CYCLE_1)
	v_cmp_lt_u64_e64 s5, 3, v[32:33]
	s_or_b32 s19, s5, s19
	s_and_not1_b32 exec_lo, exec_lo, s19
	s_cbranch_execz .LBB4_44
.LBB4_48:                               ;   Parent Loop BB4_15 Depth=1
                                        ;     Parent Loop BB4_45 Depth=2
                                        ; =>    This Loop Header: Depth=3
                                        ;         Child Loop BB4_50 Depth 4
	s_and_saveexec_b32 s20, s3
	s_cbranch_execz .LBB4_47
; %bb.49:                               ;   in Loop: Header=BB4_48 Depth=3
	ds_load_2addr_b64 v[0:3], v41 offset1:1
	ds_load_b64 v[34:35], v41 offset:16
	v_mov_b64_e32 v[36:37], v[30:31]
	v_mov_b64_e32 v[38:39], v[12:13]
	v_mov_b32_e32 v54, 0
	s_mov_b32 s21, 0
.LBB4_50:                               ;   Parent Loop BB4_15 Depth=1
                                        ;     Parent Loop BB4_45 Depth=2
                                        ;       Parent Loop BB4_48 Depth=3
                                        ; =>      This Inner Loop Header: Depth=4
	global_load_b64 v[60:61], v[36:37], off
	v_add_nc_u32_e32 v55, v52, v54
	v_add_nc_u64_e32 v[38:39], v[38:39], v[16:17]
	s_wait_xcnt 0x0
	v_add_nc_u64_e32 v[36:37], v[36:37], v[18:19]
	ds_load_2addr_b64 v[56:59], v55 offset1:16
	v_cmp_lt_u64_e64 s5, 3, v[38:39]
	s_or_b32 s21, s5, s21
	s_wait_dscnt 0x0
	v_fma_f64 v[56:57], v[0:1], v[56:57], 0
	s_delay_alu instid0(VALU_DEP_1)
	v_fmac_f64_e32 v[56:57], v[2:3], v[58:59]
	ds_load_b64 v[58:59], v55 offset:256
	v_dual_add_nc_u32 v55, v53, v54 :: v_dual_add_nc_u32 v54, v54, v43
	s_wait_dscnt 0x0
	v_fmac_f64_e32 v[56:57], v[34:35], v[58:59]
	s_wait_loadcnt 0x0
	s_delay_alu instid0(VALU_DEP_1)
	v_mul_f64_e32 v[56:57], v[60:61], v[56:57]
	ds_store_b64 v55, v[56:57]
	s_and_not1_b32 exec_lo, exec_lo, s21
	s_cbranch_execnz .LBB4_50
	s_branch .LBB4_47
.LBB4_51:                               ;   in Loop: Header=BB4_15 Depth=1
	s_or_b32 exec_lo, exec_lo, s14
	s_wait_dscnt 0x0
	s_barrier_signal -1
	s_barrier_wait -1
	s_and_saveexec_b32 s14, s0
	s_cbranch_execz .LBB4_60
; %bb.52:                               ;   in Loop: Header=BB4_15 Depth=1
	v_mov_b64_e32 v[30:31], v[8:9]
	v_mov_b32_e32 v36, v49
	s_mov_b32 s15, 0
	s_branch .LBB4_54
.LBB4_53:                               ;   in Loop: Header=BB4_54 Depth=2
	s_or_b32 exec_lo, exec_lo, s18
	v_add_nc_u64_e32 v[30:31], s[12:13], v[30:31]
	v_add_nc_u32_e32 v36, s17, v36
	s_delay_alu instid0(VALU_DEP_2) | instskip(SKIP_1) | instid1(SALU_CYCLE_1)
	v_cmp_lt_u64_e64 s5, 3, v[30:31]
	s_or_b32 s15, s5, s15
	s_and_not1_b32 exec_lo, exec_lo, s15
	s_cbranch_execz .LBB4_60
.LBB4_54:                               ;   Parent Loop BB4_15 Depth=1
                                        ; =>  This Loop Header: Depth=2
                                        ;       Child Loop BB4_57 Depth 3
                                        ;         Child Loop BB4_59 Depth 4
	s_and_saveexec_b32 s18, s4
	s_cbranch_execz .LBB4_53
; %bb.55:                               ;   in Loop: Header=BB4_54 Depth=2
	v_mov_b64_e32 v[32:33], v[10:11]
	v_lshl_add_u32 v37, v30, 7, 0x200
	v_mov_b32_e32 v38, v36
	s_mov_b32 s19, 0
	s_branch .LBB4_57
.LBB4_56:                               ;   in Loop: Header=BB4_57 Depth=3
	s_or_b32 exec_lo, exec_lo, s20
	v_add_nc_u64_e32 v[32:33], v[32:33], v[14:15]
	v_add_nc_u32_e32 v38, v38, v42
	s_delay_alu instid0(VALU_DEP_2) | instskip(SKIP_1) | instid1(SALU_CYCLE_1)
	v_cmp_lt_u64_e64 s5, 3, v[32:33]
	s_or_b32 s19, s5, s19
	s_and_not1_b32 exec_lo, exec_lo, s19
	s_cbranch_execz .LBB4_53
.LBB4_57:                               ;   Parent Loop BB4_15 Depth=1
                                        ;     Parent Loop BB4_54 Depth=2
                                        ; =>    This Loop Header: Depth=3
                                        ;         Child Loop BB4_59 Depth 4
	s_and_saveexec_b32 s20, s2
	s_cbranch_execz .LBB4_56
; %bb.58:                               ;   in Loop: Header=BB4_57 Depth=3
	v_lshl_add_u32 v4, v32, 5, v37
	v_mov_b64_e32 v[34:35], v[12:13]
	v_lshl_add_u32 v39, v12, 5, 0x460
	v_mov_b32_e32 v40, v38
	s_mov_b32 s21, 0
	ds_load_b128 v[0:3], v4
	ds_load_b128 v[4:7], v4 offset:16
.LBB4_59:                               ;   Parent Loop BB4_15 Depth=1
                                        ;     Parent Loop BB4_54 Depth=2
                                        ;       Parent Loop BB4_57 Depth=3
                                        ; =>      This Inner Loop Header: Depth=4
	ds_load_b128 v[52:55], v39
	ds_load_b128 v[56:59], v39 offset:16
	v_add_nc_u64_e32 v[34:35], v[34:35], v[16:17]
	v_lshlrev_b32_e32 v41, 5, v16
	s_delay_alu instid0(VALU_DEP_2) | instskip(SKIP_3) | instid1(VALU_DEP_1)
	v_cmp_lt_u64_e64 s5, 2, v[34:35]
	s_or_b32 s21, s5, s21
	s_wait_dscnt 0x1
	v_fma_f64 v[52:53], v[0:1], v[52:53], 0
	v_fmac_f64_e32 v[52:53], v[2:3], v[54:55]
	s_wait_dscnt 0x0
	s_delay_alu instid0(VALU_DEP_1) | instskip(NEXT) | instid1(VALU_DEP_1)
	v_fmac_f64_e32 v[52:53], v[4:5], v[56:57]
	v_fmac_f64_e32 v[52:53], v[6:7], v[58:59]
	ds_store_b64 v40, v[52:53]
	v_dual_add_nc_u32 v40, v40, v43 :: v_dual_add_nc_u32 v39, v39, v41
	s_and_not1_b32 exec_lo, exec_lo, s21
	s_cbranch_execnz .LBB4_59
	s_branch .LBB4_56
.LBB4_60:                               ;   in Loop: Header=BB4_15 Depth=1
	s_or_b32 exec_lo, exec_lo, s14
	s_wait_dscnt 0x0
	s_barrier_signal -1
	s_barrier_wait -1
	s_and_saveexec_b32 s14, s0
	s_cbranch_execz .LBB4_69
; %bb.61:                               ;   in Loop: Header=BB4_15 Depth=1
	v_mov_b64_e32 v[30:31], v[8:9]
	v_dual_mov_b32 v36, v46 :: v_dual_add_nc_u32 v37, 0x200, v50
	s_mov_b32 s15, 0
	s_branch .LBB4_63
.LBB4_62:                               ;   in Loop: Header=BB4_63 Depth=2
	s_or_b32 exec_lo, exec_lo, s18
	v_add_nc_u64_e32 v[30:31], s[12:13], v[30:31]
	v_dual_add_nc_u32 v37, s16, v37 :: v_dual_add_nc_u32 v36, s17, v36
	s_delay_alu instid0(VALU_DEP_2) | instskip(SKIP_1) | instid1(SALU_CYCLE_1)
	v_cmp_lt_u64_e64 s5, 3, v[30:31]
	s_or_b32 s15, s5, s15
	s_and_not1_b32 exec_lo, exec_lo, s15
	s_cbranch_execz .LBB4_69
.LBB4_63:                               ;   Parent Loop BB4_15 Depth=1
                                        ; =>  This Loop Header: Depth=2
                                        ;       Child Loop BB4_66 Depth 3
                                        ;         Child Loop BB4_68 Depth 4
	s_and_saveexec_b32 s18, s1
	s_cbranch_execz .LBB4_62
; %bb.64:                               ;   in Loop: Header=BB4_63 Depth=2
	v_mov_b64_e32 v[32:33], v[10:11]
	v_mov_b32_e32 v38, v37
	s_mov_b32 s19, 0
	s_branch .LBB4_66
.LBB4_65:                               ;   in Loop: Header=BB4_66 Depth=3
	s_or_b32 exec_lo, exec_lo, s20
	v_add_nc_u64_e32 v[32:33], v[32:33], v[14:15]
	v_add_nc_u32_e32 v38, v38, v42
	s_delay_alu instid0(VALU_DEP_2) | instskip(SKIP_1) | instid1(SALU_CYCLE_1)
	v_cmp_lt_u64_e64 s5, 2, v[32:33]
	s_or_b32 s19, s5, s19
	s_and_not1_b32 exec_lo, exec_lo, s19
	s_cbranch_execz .LBB4_62
.LBB4_66:                               ;   Parent Loop BB4_15 Depth=1
                                        ;     Parent Loop BB4_63 Depth=2
                                        ; =>    This Loop Header: Depth=3
                                        ;         Child Loop BB4_68 Depth 4
	s_and_saveexec_b32 s20, s2
	s_cbranch_execz .LBB4_65
; %bb.67:                               ;   in Loop: Header=BB4_66 Depth=3
	s_delay_alu instid0(VALU_DEP_2)
	v_dual_mov_b32 v39, 0 :: v_dual_lshlrev_b32 v4, 5, v32
	v_mov_b64_e32 v[34:35], v[12:13]
	s_mov_b32 s21, 0
	ds_load_b128 v[0:3], v4 offset:1120
	ds_load_b128 v[4:7], v4 offset:1136
.LBB4_68:                               ;   Parent Loop BB4_15 Depth=1
                                        ;     Parent Loop BB4_63 Depth=2
                                        ;       Parent Loop BB4_66 Depth=3
                                        ; =>      This Inner Loop Header: Depth=4
	v_add_nc_u32_e32 v56, v36, v39
	v_add_nc_u64_e32 v[34:35], v[34:35], v[16:17]
	ds_load_2addr_b64 v[52:55], v56 offset1:3
	v_cmp_lt_u64_e64 s5, 2, v[34:35]
	s_or_b32 s21, s5, s21
	s_wait_dscnt 0x0
	v_fma_f64 v[40:41], v[0:1], v[52:53], 0
	s_delay_alu instid0(VALU_DEP_1)
	v_fmac_f64_e32 v[40:41], v[2:3], v[54:55]
	ds_load_2addr_b64 v[52:55], v56 offset0:6 offset1:9
	s_wait_dscnt 0x0
	v_fmac_f64_e32 v[40:41], v[4:5], v[52:53]
	v_add_nc_u32_e32 v52, v38, v39
	v_add_nc_u32_e32 v39, v39, v43
	s_delay_alu instid0(VALU_DEP_3)
	v_fmac_f64_e32 v[40:41], v[6:7], v[54:55]
	ds_store_b64 v52, v[40:41]
	s_and_not1_b32 exec_lo, exec_lo, s21
	s_cbranch_execnz .LBB4_68
	s_branch .LBB4_65
.LBB4_69:                               ;   in Loop: Header=BB4_15 Depth=1
	s_or_b32 exec_lo, exec_lo, s14
	s_wait_dscnt 0x0
	s_barrier_signal -1
	s_barrier_wait -1
	s_and_saveexec_b32 s14, vcc_lo
	s_cbranch_execz .LBB4_14
; %bb.70:                               ;   in Loop: Header=BB4_15 Depth=1
	v_mov_b64_e32 v[30:31], v[28:29]
	v_mov_b64_e32 v[32:33], v[8:9]
	s_mov_b32 s15, 0
	s_branch .LBB4_72
.LBB4_71:                               ;   in Loop: Header=BB4_72 Depth=2
	s_or_b32 exec_lo, exec_lo, s18
	s_delay_alu instid0(VALU_DEP_1) | instskip(SKIP_1) | instid1(VALU_DEP_2)
	v_add_nc_u64_e32 v[32:33], s[12:13], v[32:33]
	v_add_nc_u64_e32 v[30:31], s[6:7], v[30:31]
	v_cmp_lt_u64_e64 s5, 2, v[32:33]
	s_or_b32 s15, s5, s15
	s_delay_alu instid0(SALU_CYCLE_1)
	s_and_not1_b32 exec_lo, exec_lo, s15
	s_cbranch_execz .LBB4_14
.LBB4_72:                               ;   Parent Loop BB4_15 Depth=1
                                        ; =>  This Loop Header: Depth=2
                                        ;       Child Loop BB4_75 Depth 3
                                        ;         Child Loop BB4_77 Depth 4
	s_and_saveexec_b32 s18, s1
	s_cbranch_execz .LBB4_71
; %bb.73:                               ;   in Loop: Header=BB4_72 Depth=2
	s_delay_alu instid0(VALU_DEP_2)
	v_mov_b64_e32 v[34:35], v[30:31]
	v_mov_b64_e32 v[36:37], v[10:11]
	v_lshl_add_u32 v52, v32, 5, 0x460
	v_mov_b32_e32 v53, v51
	s_mov_b32 s19, 0
	s_branch .LBB4_75
.LBB4_74:                               ;   in Loop: Header=BB4_75 Depth=3
	s_or_b32 exec_lo, exec_lo, s20
	v_add_nc_u64_e32 v[36:37], v[36:37], v[14:15]
	v_add_nc_u64_e32 v[34:35], v[34:35], v[22:23]
	v_add_nc_u32_e32 v53, v53, v42
	s_delay_alu instid0(VALU_DEP_3) | instskip(SKIP_1) | instid1(SALU_CYCLE_1)
	v_cmp_lt_u64_e64 s5, 2, v[36:37]
	s_or_b32 s19, s5, s19
	s_and_not1_b32 exec_lo, exec_lo, s19
	s_cbranch_execz .LBB4_71
.LBB4_75:                               ;   Parent Loop BB4_15 Depth=1
                                        ;     Parent Loop BB4_72 Depth=2
                                        ; =>    This Loop Header: Depth=3
                                        ;         Child Loop BB4_77 Depth 4
	s_and_saveexec_b32 s20, s2
	s_cbranch_execz .LBB4_74
; %bb.76:                               ;   in Loop: Header=BB4_75 Depth=3
	ds_load_b128 v[0:3], v52
	ds_load_b128 v[4:7], v52 offset:16
	v_mov_b64_e32 v[38:39], v[34:35]
	v_mov_b64_e32 v[40:41], v[12:13]
	v_mov_b32_e32 v54, v53
	s_mov_b32 s21, 0
.LBB4_77:                               ;   Parent Loop BB4_15 Depth=1
                                        ;     Parent Loop BB4_72 Depth=2
                                        ;       Parent Loop BB4_75 Depth=3
                                        ; =>      This Inner Loop Header: Depth=4
	ds_load_2addr_b64 v[56:59], v54 offset1:9
	v_add_nc_u64_e32 v[40:41], v[40:41], v[16:17]
	s_delay_alu instid0(VALU_DEP_1) | instskip(SKIP_3) | instid1(VALU_DEP_1)
	v_cmp_lt_u64_e64 s5, 2, v[40:41]
	s_or_b32 s21, s5, s21
	s_wait_dscnt 0x0
	v_fma_f64 v[60:61], v[56:57], v[0:1], 0
	v_fmac_f64_e32 v[60:61], v[58:59], v[2:3]
	ds_load_2addr_b64 v[56:59], v54 offset0:18 offset1:27
	v_add_nc_u32_e32 v54, v54, v43
	s_wait_dscnt 0x0
	v_fmac_f64_e32 v[60:61], v[56:57], v[4:5]
	s_delay_alu instid0(VALU_DEP_1)
	v_fmac_f64_e32 v[60:61], v[58:59], v[6:7]
	global_store_b64 v[38:39], v[60:61], off
	s_wait_xcnt 0x0
	v_add_nc_u64_e32 v[38:39], v[38:39], v[18:19]
	s_and_not1_b32 exec_lo, exec_lo, s21
	s_cbranch_execnz .LBB4_77
	s_branch .LBB4_74
.LBB4_78:
	s_endpgm
	.section	.rodata,"a",@progbits
	.p2align	6, 0x0
	.amdhsa_kernel _ZN4RAJA34launch_new_reduce_global_fcn_fixedIZN8rajaperf4apps11MASSVEC3DPA17runHipVariantImplILm64ELm2EEEvNS1_9VariantIDEEUlNS_14LaunchContextTINS_3hip33LaunchContextIndicesAndDimsPolicyINS7_14IndicesAndDimsILb0ELb0ELb1ELb0EEEEEEEE_Li64ENS_4expt15ForallParamPackIJEEEEEvT_T1_
		.amdhsa_group_segment_fixed_size 1216
		.amdhsa_private_segment_fixed_size 0
		.amdhsa_kernarg_size 304
		.amdhsa_user_sgpr_count 2
		.amdhsa_user_sgpr_dispatch_ptr 0
		.amdhsa_user_sgpr_queue_ptr 0
		.amdhsa_user_sgpr_kernarg_segment_ptr 1
		.amdhsa_user_sgpr_dispatch_id 0
		.amdhsa_user_sgpr_kernarg_preload_length 0
		.amdhsa_user_sgpr_kernarg_preload_offset 0
		.amdhsa_user_sgpr_private_segment_size 0
		.amdhsa_wavefront_size32 1
		.amdhsa_uses_dynamic_stack 0
		.amdhsa_enable_private_segment 0
		.amdhsa_system_sgpr_workgroup_id_x 1
		.amdhsa_system_sgpr_workgroup_id_y 0
		.amdhsa_system_sgpr_workgroup_id_z 0
		.amdhsa_system_sgpr_workgroup_info 0
		.amdhsa_system_vgpr_workitem_id 2
		.amdhsa_next_free_vgpr 62
		.amdhsa_next_free_sgpr 27
		.amdhsa_named_barrier_count 0
		.amdhsa_reserve_vcc 1
		.amdhsa_float_round_mode_32 0
		.amdhsa_float_round_mode_16_64 0
		.amdhsa_float_denorm_mode_32 3
		.amdhsa_float_denorm_mode_16_64 3
		.amdhsa_fp16_overflow 0
		.amdhsa_memory_ordered 1
		.amdhsa_forward_progress 1
		.amdhsa_inst_pref_size 24
		.amdhsa_round_robin_scheduling 0
		.amdhsa_exception_fp_ieee_invalid_op 0
		.amdhsa_exception_fp_denorm_src 0
		.amdhsa_exception_fp_ieee_div_zero 0
		.amdhsa_exception_fp_ieee_overflow 0
		.amdhsa_exception_fp_ieee_underflow 0
		.amdhsa_exception_fp_ieee_inexact 0
		.amdhsa_exception_int_div_zero 0
	.end_amdhsa_kernel
	.section	.text._ZN4RAJA34launch_new_reduce_global_fcn_fixedIZN8rajaperf4apps11MASSVEC3DPA17runHipVariantImplILm64ELm2EEEvNS1_9VariantIDEEUlNS_14LaunchContextTINS_3hip33LaunchContextIndicesAndDimsPolicyINS7_14IndicesAndDimsILb0ELb0ELb1ELb0EEEEEEEE_Li64ENS_4expt15ForallParamPackIJEEEEEvT_T1_,"axG",@progbits,_ZN4RAJA34launch_new_reduce_global_fcn_fixedIZN8rajaperf4apps11MASSVEC3DPA17runHipVariantImplILm64ELm2EEEvNS1_9VariantIDEEUlNS_14LaunchContextTINS_3hip33LaunchContextIndicesAndDimsPolicyINS7_14IndicesAndDimsILb0ELb0ELb1ELb0EEEEEEEE_Li64ENS_4expt15ForallParamPackIJEEEEEvT_T1_,comdat
.Lfunc_end4:
	.size	_ZN4RAJA34launch_new_reduce_global_fcn_fixedIZN8rajaperf4apps11MASSVEC3DPA17runHipVariantImplILm64ELm2EEEvNS1_9VariantIDEEUlNS_14LaunchContextTINS_3hip33LaunchContextIndicesAndDimsPolicyINS7_14IndicesAndDimsILb0ELb0ELb1ELb0EEEEEEEE_Li64ENS_4expt15ForallParamPackIJEEEEEvT_T1_, .Lfunc_end4-_ZN4RAJA34launch_new_reduce_global_fcn_fixedIZN8rajaperf4apps11MASSVEC3DPA17runHipVariantImplILm64ELm2EEEvNS1_9VariantIDEEUlNS_14LaunchContextTINS_3hip33LaunchContextIndicesAndDimsPolicyINS7_14IndicesAndDimsILb0ELb0ELb1ELb0EEEEEEEE_Li64ENS_4expt15ForallParamPackIJEEEEEvT_T1_
                                        ; -- End function
	.set _ZN4RAJA34launch_new_reduce_global_fcn_fixedIZN8rajaperf4apps11MASSVEC3DPA17runHipVariantImplILm64ELm2EEEvNS1_9VariantIDEEUlNS_14LaunchContextTINS_3hip33LaunchContextIndicesAndDimsPolicyINS7_14IndicesAndDimsILb0ELb0ELb1ELb0EEEEEEEE_Li64ENS_4expt15ForallParamPackIJEEEEEvT_T1_.num_vgpr, 62
	.set _ZN4RAJA34launch_new_reduce_global_fcn_fixedIZN8rajaperf4apps11MASSVEC3DPA17runHipVariantImplILm64ELm2EEEvNS1_9VariantIDEEUlNS_14LaunchContextTINS_3hip33LaunchContextIndicesAndDimsPolicyINS7_14IndicesAndDimsILb0ELb0ELb1ELb0EEEEEEEE_Li64ENS_4expt15ForallParamPackIJEEEEEvT_T1_.num_agpr, 0
	.set _ZN4RAJA34launch_new_reduce_global_fcn_fixedIZN8rajaperf4apps11MASSVEC3DPA17runHipVariantImplILm64ELm2EEEvNS1_9VariantIDEEUlNS_14LaunchContextTINS_3hip33LaunchContextIndicesAndDimsPolicyINS7_14IndicesAndDimsILb0ELb0ELb1ELb0EEEEEEEE_Li64ENS_4expt15ForallParamPackIJEEEEEvT_T1_.numbered_sgpr, 27
	.set _ZN4RAJA34launch_new_reduce_global_fcn_fixedIZN8rajaperf4apps11MASSVEC3DPA17runHipVariantImplILm64ELm2EEEvNS1_9VariantIDEEUlNS_14LaunchContextTINS_3hip33LaunchContextIndicesAndDimsPolicyINS7_14IndicesAndDimsILb0ELb0ELb1ELb0EEEEEEEE_Li64ENS_4expt15ForallParamPackIJEEEEEvT_T1_.num_named_barrier, 0
	.set _ZN4RAJA34launch_new_reduce_global_fcn_fixedIZN8rajaperf4apps11MASSVEC3DPA17runHipVariantImplILm64ELm2EEEvNS1_9VariantIDEEUlNS_14LaunchContextTINS_3hip33LaunchContextIndicesAndDimsPolicyINS7_14IndicesAndDimsILb0ELb0ELb1ELb0EEEEEEEE_Li64ENS_4expt15ForallParamPackIJEEEEEvT_T1_.private_seg_size, 0
	.set _ZN4RAJA34launch_new_reduce_global_fcn_fixedIZN8rajaperf4apps11MASSVEC3DPA17runHipVariantImplILm64ELm2EEEvNS1_9VariantIDEEUlNS_14LaunchContextTINS_3hip33LaunchContextIndicesAndDimsPolicyINS7_14IndicesAndDimsILb0ELb0ELb1ELb0EEEEEEEE_Li64ENS_4expt15ForallParamPackIJEEEEEvT_T1_.uses_vcc, 1
	.set _ZN4RAJA34launch_new_reduce_global_fcn_fixedIZN8rajaperf4apps11MASSVEC3DPA17runHipVariantImplILm64ELm2EEEvNS1_9VariantIDEEUlNS_14LaunchContextTINS_3hip33LaunchContextIndicesAndDimsPolicyINS7_14IndicesAndDimsILb0ELb0ELb1ELb0EEEEEEEE_Li64ENS_4expt15ForallParamPackIJEEEEEvT_T1_.uses_flat_scratch, 0
	.set _ZN4RAJA34launch_new_reduce_global_fcn_fixedIZN8rajaperf4apps11MASSVEC3DPA17runHipVariantImplILm64ELm2EEEvNS1_9VariantIDEEUlNS_14LaunchContextTINS_3hip33LaunchContextIndicesAndDimsPolicyINS7_14IndicesAndDimsILb0ELb0ELb1ELb0EEEEEEEE_Li64ENS_4expt15ForallParamPackIJEEEEEvT_T1_.has_dyn_sized_stack, 0
	.set _ZN4RAJA34launch_new_reduce_global_fcn_fixedIZN8rajaperf4apps11MASSVEC3DPA17runHipVariantImplILm64ELm2EEEvNS1_9VariantIDEEUlNS_14LaunchContextTINS_3hip33LaunchContextIndicesAndDimsPolicyINS7_14IndicesAndDimsILb0ELb0ELb1ELb0EEEEEEEE_Li64ENS_4expt15ForallParamPackIJEEEEEvT_T1_.has_recursion, 0
	.set _ZN4RAJA34launch_new_reduce_global_fcn_fixedIZN8rajaperf4apps11MASSVEC3DPA17runHipVariantImplILm64ELm2EEEvNS1_9VariantIDEEUlNS_14LaunchContextTINS_3hip33LaunchContextIndicesAndDimsPolicyINS7_14IndicesAndDimsILb0ELb0ELb1ELb0EEEEEEEE_Li64ENS_4expt15ForallParamPackIJEEEEEvT_T1_.has_indirect_call, 0
	.section	.AMDGPU.csdata,"",@progbits
; Kernel info:
; codeLenInByte = 3036
; TotalNumSgprs: 29
; NumVgprs: 62
; ScratchSize: 0
; MemoryBound: 0
; FloatMode: 240
; IeeeMode: 1
; LDSByteSize: 1216 bytes/workgroup (compile time only)
; SGPRBlocks: 0
; VGPRBlocks: 3
; NumSGPRsForWavesPerEU: 29
; NumVGPRsForWavesPerEU: 62
; NamedBarCnt: 0
; Occupancy: 16
; WaveLimiterHint : 0
; COMPUTE_PGM_RSRC2:SCRATCH_EN: 0
; COMPUTE_PGM_RSRC2:USER_SGPR: 2
; COMPUTE_PGM_RSRC2:TRAP_HANDLER: 0
; COMPUTE_PGM_RSRC2:TGID_X_EN: 1
; COMPUTE_PGM_RSRC2:TGID_Y_EN: 0
; COMPUTE_PGM_RSRC2:TGID_Z_EN: 0
; COMPUTE_PGM_RSRC2:TIDIG_COMP_CNT: 2
	.section	.AMDGPU.gpr_maximums,"",@progbits
	.set amdgpu.max_num_vgpr, 0
	.set amdgpu.max_num_agpr, 0
	.set amdgpu.max_num_sgpr, 0
	.section	.AMDGPU.csdata,"",@progbits
	.type	__hip_cuid_13fd6456964a2d5a,@object ; @__hip_cuid_13fd6456964a2d5a
	.section	.bss,"aw",@nobits
	.globl	__hip_cuid_13fd6456964a2d5a
__hip_cuid_13fd6456964a2d5a:
	.byte	0                               ; 0x0
	.size	__hip_cuid_13fd6456964a2d5a, 1

	.ident	"AMD clang version 22.0.0git (https://github.com/RadeonOpenCompute/llvm-project roc-7.2.4 26084 f58b06dce1f9c15707c5f808fd002e18c2accf7e)"
	.section	".note.GNU-stack","",@progbits
	.addrsig
	.addrsig_sym __hip_cuid_13fd6456964a2d5a
	.amdgpu_metadata
---
amdhsa.kernels:
  - .args:
      - .address_space:  global
        .offset:         0
        .size:           8
        .value_kind:     global_buffer
      - .address_space:  global
        .offset:         8
        .size:           8
        .value_kind:     global_buffer
      - .address_space:  global
        .offset:         16
        .size:           8
        .value_kind:     global_buffer
      - .address_space:  global
        .offset:         24
        .size:           8
        .value_kind:     global_buffer
      - .offset:         32
        .size:           4
        .value_kind:     hidden_block_count_x
      - .offset:         36
        .size:           4
        .value_kind:     hidden_block_count_y
      - .offset:         40
        .size:           4
        .value_kind:     hidden_block_count_z
      - .offset:         44
        .size:           2
        .value_kind:     hidden_group_size_x
      - .offset:         46
        .size:           2
        .value_kind:     hidden_group_size_y
      - .offset:         48
        .size:           2
        .value_kind:     hidden_group_size_z
      - .offset:         50
        .size:           2
        .value_kind:     hidden_remainder_x
      - .offset:         52
        .size:           2
        .value_kind:     hidden_remainder_y
      - .offset:         54
        .size:           2
        .value_kind:     hidden_remainder_z
      - .offset:         72
        .size:           8
        .value_kind:     hidden_global_offset_x
      - .offset:         80
        .size:           8
        .value_kind:     hidden_global_offset_y
      - .offset:         88
        .size:           8
        .value_kind:     hidden_global_offset_z
      - .offset:         96
        .size:           2
        .value_kind:     hidden_grid_dims
    .group_segment_fixed_size: 1216
    .kernarg_segment_align: 8
    .kernarg_segment_size: 288
    .language:       OpenCL C
    .language_version:
      - 2
      - 0
    .max_flat_workgroup_size: 64
    .name:           _ZN8rajaperf4apps15MassVec3DPALoopILm64EEEvPdS2_S2_S2_
    .private_segment_fixed_size: 0
    .sgpr_count:     21
    .sgpr_spill_count: 0
    .symbol:         _ZN8rajaperf4apps15MassVec3DPALoopILm64EEEvPdS2_S2_S2_.kd
    .uniform_work_group_size: 1
    .uses_dynamic_stack: false
    .vgpr_count:     62
    .vgpr_spill_count: 0
    .wavefront_size: 32
  - .args:
      - .offset:         0
        .size:           40
        .value_kind:     by_value
      - .offset:         40
        .size:           1
        .value_kind:     by_value
      - .offset:         48
        .size:           4
        .value_kind:     hidden_block_count_x
      - .offset:         52
        .size:           4
        .value_kind:     hidden_block_count_y
      - .offset:         56
        .size:           4
        .value_kind:     hidden_block_count_z
      - .offset:         60
        .size:           2
        .value_kind:     hidden_group_size_x
      - .offset:         62
        .size:           2
        .value_kind:     hidden_group_size_y
      - .offset:         64
        .size:           2
        .value_kind:     hidden_group_size_z
      - .offset:         66
        .size:           2
        .value_kind:     hidden_remainder_x
      - .offset:         68
        .size:           2
        .value_kind:     hidden_remainder_y
      - .offset:         70
        .size:           2
        .value_kind:     hidden_remainder_z
      - .offset:         88
        .size:           8
        .value_kind:     hidden_global_offset_x
      - .offset:         96
        .size:           8
        .value_kind:     hidden_global_offset_y
      - .offset:         104
        .size:           8
        .value_kind:     hidden_global_offset_z
      - .offset:         112
        .size:           2
        .value_kind:     hidden_grid_dims
    .group_segment_fixed_size: 1216
    .kernarg_segment_align: 8
    .kernarg_segment_size: 304
    .language:       OpenCL C
    .language_version:
      - 2
      - 0
    .max_flat_workgroup_size: 64
    .name:           _ZN4RAJA34launch_new_reduce_global_fcn_fixedIZN8rajaperf4apps11MASSVEC3DPA17runHipVariantImplILm64ELm0EEEvNS1_9VariantIDEEUlNS_14LaunchContextTINS_3hip33LaunchContextIndicesAndDimsPolicyINS7_14IndicesAndDimsILb0ELb0ELb0ELb0EEEEEEEE_Li64ENS_4expt15ForallParamPackIJEEEEEvT_T1_
    .private_segment_fixed_size: 0
    .sgpr_count:     32
    .sgpr_spill_count: 0
    .symbol:         _ZN4RAJA34launch_new_reduce_global_fcn_fixedIZN8rajaperf4apps11MASSVEC3DPA17runHipVariantImplILm64ELm0EEEvNS1_9VariantIDEEUlNS_14LaunchContextTINS_3hip33LaunchContextIndicesAndDimsPolicyINS7_14IndicesAndDimsILb0ELb0ELb0ELb0EEEEEEEE_Li64ENS_4expt15ForallParamPackIJEEEEEvT_T1_.kd
    .uniform_work_group_size: 1
    .uses_dynamic_stack: false
    .vgpr_count:     62
    .vgpr_spill_count: 0
    .wavefront_size: 32
  - .args:
      - .address_space:  global
        .offset:         0
        .size:           8
        .value_kind:     global_buffer
      - .address_space:  global
        .offset:         8
        .size:           8
        .value_kind:     global_buffer
      - .address_space:  global
        .offset:         16
        .size:           8
        .value_kind:     global_buffer
      - .address_space:  global
        .offset:         24
        .size:           8
        .value_kind:     global_buffer
    .group_segment_fixed_size: 1216
    .kernarg_segment_align: 8
    .kernarg_segment_size: 32
    .language:       OpenCL C
    .language_version:
      - 2
      - 0
    .max_flat_workgroup_size: 64
    .name:           _ZN8rajaperf4apps17MassVec3DPADirectILm64EEEvPdS2_S2_S2_
    .private_segment_fixed_size: 0
    .sgpr_count:     16
    .sgpr_spill_count: 0
    .symbol:         _ZN8rajaperf4apps17MassVec3DPADirectILm64EEEvPdS2_S2_S2_.kd
    .uniform_work_group_size: 1
    .uses_dynamic_stack: false
    .vgpr_count:     44
    .vgpr_spill_count: 0
    .wavefront_size: 32
  - .args:
      - .offset:         0
        .size:           40
        .value_kind:     by_value
      - .offset:         40
        .size:           1
        .value_kind:     by_value
    .group_segment_fixed_size: 1216
    .kernarg_segment_align: 8
    .kernarg_segment_size: 44
    .language:       OpenCL C
    .language_version:
      - 2
      - 0
    .max_flat_workgroup_size: 64
    .name:           _ZN4RAJA34launch_new_reduce_global_fcn_fixedIZN8rajaperf4apps11MASSVEC3DPA17runHipVariantImplILm64ELm1EEEvNS1_9VariantIDEEUlNS_14LaunchContextTINS_3hip33LaunchContextIndicesAndDimsPolicyINS7_14IndicesAndDimsILb0ELb0ELb0ELb0EEEEEEEE_Li64ENS_4expt15ForallParamPackIJEEEEEvT_T1_
    .private_segment_fixed_size: 0
    .sgpr_count:     16
    .sgpr_spill_count: 0
    .symbol:         _ZN4RAJA34launch_new_reduce_global_fcn_fixedIZN8rajaperf4apps11MASSVEC3DPA17runHipVariantImplILm64ELm1EEEvNS1_9VariantIDEEUlNS_14LaunchContextTINS_3hip33LaunchContextIndicesAndDimsPolicyINS7_14IndicesAndDimsILb0ELb0ELb0ELb0EEEEEEEE_Li64ENS_4expt15ForallParamPackIJEEEEEvT_T1_.kd
    .uniform_work_group_size: 1
    .uses_dynamic_stack: false
    .vgpr_count:     44
    .vgpr_spill_count: 0
    .wavefront_size: 32
  - .args:
      - .offset:         0
        .size:           40
        .value_kind:     by_value
      - .offset:         40
        .size:           1
        .value_kind:     by_value
      - .offset:         48
        .size:           4
        .value_kind:     hidden_block_count_x
      - .offset:         52
        .size:           4
        .value_kind:     hidden_block_count_y
      - .offset:         56
        .size:           4
        .value_kind:     hidden_block_count_z
      - .offset:         60
        .size:           2
        .value_kind:     hidden_group_size_x
      - .offset:         62
        .size:           2
        .value_kind:     hidden_group_size_y
      - .offset:         64
        .size:           2
        .value_kind:     hidden_group_size_z
      - .offset:         66
        .size:           2
        .value_kind:     hidden_remainder_x
      - .offset:         68
        .size:           2
        .value_kind:     hidden_remainder_y
      - .offset:         70
        .size:           2
        .value_kind:     hidden_remainder_z
      - .offset:         88
        .size:           8
        .value_kind:     hidden_global_offset_x
      - .offset:         96
        .size:           8
        .value_kind:     hidden_global_offset_y
      - .offset:         104
        .size:           8
        .value_kind:     hidden_global_offset_z
      - .offset:         112
        .size:           2
        .value_kind:     hidden_grid_dims
    .group_segment_fixed_size: 1216
    .kernarg_segment_align: 8
    .kernarg_segment_size: 304
    .language:       OpenCL C
    .language_version:
      - 2
      - 0
    .max_flat_workgroup_size: 64
    .name:           _ZN4RAJA34launch_new_reduce_global_fcn_fixedIZN8rajaperf4apps11MASSVEC3DPA17runHipVariantImplILm64ELm2EEEvNS1_9VariantIDEEUlNS_14LaunchContextTINS_3hip33LaunchContextIndicesAndDimsPolicyINS7_14IndicesAndDimsILb0ELb0ELb1ELb0EEEEEEEE_Li64ENS_4expt15ForallParamPackIJEEEEEvT_T1_
    .private_segment_fixed_size: 0
    .sgpr_count:     29
    .sgpr_spill_count: 0
    .symbol:         _ZN4RAJA34launch_new_reduce_global_fcn_fixedIZN8rajaperf4apps11MASSVEC3DPA17runHipVariantImplILm64ELm2EEEvNS1_9VariantIDEEUlNS_14LaunchContextTINS_3hip33LaunchContextIndicesAndDimsPolicyINS7_14IndicesAndDimsILb0ELb0ELb1ELb0EEEEEEEE_Li64ENS_4expt15ForallParamPackIJEEEEEvT_T1_.kd
    .uniform_work_group_size: 1
    .uses_dynamic_stack: false
    .vgpr_count:     62
    .vgpr_spill_count: 0
    .wavefront_size: 32
amdhsa.target:   amdgcn-amd-amdhsa--gfx1250
amdhsa.version:
  - 1
  - 2
...

	.end_amdgpu_metadata
